;; amdgpu-corpus repo=ROCm/rocBLAS kind=compiled arch=gfx1100 opt=O3
	.text
	.amdgcn_target "amdgcn-amd-amdhsa--gfx1100"
	.amdhsa_code_object_version 6
	.section	.text._ZL19rocblas_spmv_kernelILi64ELi16EPKfS1_PfEvbiT1_lT2_llS4_lllS3_lT3_llli,"axG",@progbits,_ZL19rocblas_spmv_kernelILi64ELi16EPKfS1_PfEvbiT1_lT2_llS4_lllS3_lT3_llli,comdat
	.globl	_ZL19rocblas_spmv_kernelILi64ELi16EPKfS1_PfEvbiT1_lT2_llS4_lllS3_lT3_llli ; -- Begin function _ZL19rocblas_spmv_kernelILi64ELi16EPKfS1_PfEvbiT1_lT2_llS4_lllS3_lT3_llli
	.p2align	8
	.type	_ZL19rocblas_spmv_kernelILi64ELi16EPKfS1_PfEvbiT1_lT2_llS4_lllS3_lT3_llli,@function
_ZL19rocblas_spmv_kernelILi64ELi16EPKfS1_PfEvbiT1_lT2_llS4_lllS3_lT3_llli: ; @_ZL19rocblas_spmv_kernelILi64ELi16EPKfS1_PfEvbiT1_lT2_llS4_lllS3_lT3_llli
; %bb.0:
	s_load_b64 s[2:3], s[0:1], 0x94
	s_waitcnt lgkmcnt(0)
	s_lshr_b32 s4, s2, 16
	s_and_b32 s2, s2, 0xffff
	s_and_b32 s3, s3, 0xffff
	s_mul_i32 s4, s4, s2
	s_delay_alu instid0(SALU_CYCLE_1) | instskip(NEXT) | instid1(SALU_CYCLE_1)
	s_mul_i32 s4, s4, s3
	s_cmpk_lg_i32 s4, 0x400
	s_cbranch_scc1 .LBB0_26
; %bb.1:
	s_clause 0x2
	s_load_b128 s[16:19], s[0:1], 0x8
	s_load_b64 s[12:13], s[0:1], 0x58
	s_load_b256 s[4:11], s[0:1], 0x38
	s_mov_b32 s24, 0
	s_waitcnt lgkmcnt(0)
	s_mul_i32 s3, s15, s19
	s_mul_hi_u32 s19, s15, s18
	s_mul_i32 s18, s15, s18
	s_add_i32 s19, s19, s3
	s_mul_i32 s3, s15, s13
	s_lshl_b64 s[18:19], s[18:19], 2
	s_mul_hi_u32 s13, s15, s12
	s_add_u32 s16, s16, s18
	s_addc_u32 s17, s17, s19
	s_add_i32 s13, s13, s3
	s_mul_i32 s12, s15, s12
	s_delay_alu instid0(SALU_CYCLE_1) | instskip(NEXT) | instid1(SALU_CYCLE_1)
	s_lshl_b64 s[12:13], s[12:13], 2
	s_add_u32 s10, s10, s12
	s_addc_u32 s11, s11, s13
	s_load_b32 s25, s[16:17], 0x0
	s_load_b32 s12, s[10:11], 0x0
	s_waitcnt lgkmcnt(0)
	v_cmp_eq_f32_e64 s3, s25, 0
	v_cmp_eq_f32_e64 s10, s12, 1.0
	s_delay_alu instid0(VALU_DEP_1) | instskip(NEXT) | instid1(SALU_CYCLE_1)
	s_and_b32 s3, s3, s10
	s_and_b32 vcc_lo, exec_lo, s3
	s_cbranch_vccnz .LBB0_26
; %bb.2:
	s_clause 0x3
	s_load_b64 s[20:21], s[0:1], 0x78
	s_load_b64 s[22:23], s[0:1], 0x60
	s_load_b128 s[16:19], s[0:1], 0x68
	s_load_b64 s[10:11], s[0:1], 0x0
	v_and_b32_e32 v1, 0x3ff, v0
	v_bfe_u32 v0, v0, 10, 10
	v_cmp_neq_f32_e64 s26, s25, 0
	s_delay_alu instid0(VALU_DEP_2)
	v_mad_u32_u24 v5, v0, s2, v1
	s_waitcnt lgkmcnt(0)
	s_mul_i32 s3, s15, s21
	s_mul_hi_u32 s13, s15, s20
	s_mul_i32 s20, s15, s20
	s_add_i32 s21, s13, s3
	s_delay_alu instid0(SALU_CYCLE_1) | instskip(NEXT) | instid1(SALU_CYCLE_1)
	s_lshl_b64 s[20:21], s[20:21], 2
	s_add_u32 s13, s22, s20
	s_addc_u32 s20, s23, s21
	s_lshl_b64 s[2:3], s[16:17], 2
	s_delay_alu instid0(SALU_CYCLE_1)
	s_add_u32 s13, s13, s2
	v_cmp_gt_u32_e64 s2, 64, v5
	s_addc_u32 s16, s20, s3
	s_and_b32 vcc_lo, exec_lo, s26
	s_cbranch_vccnz .LBB0_7
; %bb.3:
	v_lshl_add_u32 v3, s14, 6, v5
	s_mov_b32 s3, 0
                                        ; implicit-def: $vgpr2
                                        ; implicit-def: $vgpr0_vgpr1
	s_delay_alu instid0(VALU_DEP_1) | instskip(SKIP_1) | instid1(SALU_CYCLE_1)
	v_cmp_gt_i32_e32 vcc_lo, s11, v3
	s_and_b32 s17, s2, vcc_lo
	s_and_saveexec_b32 s2, s17
	s_cbranch_execz .LBB0_8
; %bb.4:
	v_ashrrev_i32_e32 v2, 31, v3
	v_mul_lo_u32 v4, v3, s19
	v_mad_u64_u32 v[0:1], null, v3, s18, 0
	v_cmp_eq_f32_e64 s17, s12, 0
	s_delay_alu instid0(VALU_DEP_4) | instskip(NEXT) | instid1(VALU_DEP_2)
	v_mul_lo_u32 v2, v2, s18
	s_and_b32 vcc_lo, exec_lo, s17
	s_delay_alu instid0(VALU_DEP_1)
	v_add3_u32 v1, v1, v4, v2
	v_mov_b32_e32 v2, 0
	s_cbranch_vccnz .LBB0_6
; %bb.5:
	s_delay_alu instid0(VALU_DEP_2) | instskip(NEXT) | instid1(VALU_DEP_1)
	v_lshlrev_b64 v[2:3], 2, v[0:1]
	v_add_co_u32 v2, vcc_lo, s13, v2
	s_delay_alu instid0(VALU_DEP_2)
	v_add_co_ci_u32_e32 v3, vcc_lo, s16, v3, vcc_lo
	global_load_b32 v2, v[2:3], off
	s_waitcnt vmcnt(0)
	v_mul_f32_e32 v2, s12, v2
.LBB0_6:
	s_mov_b32 s24, exec_lo
	s_or_b32 exec_lo, exec_lo, s2
	s_delay_alu instid0(SALU_CYCLE_1)
	s_and_b32 vcc_lo, exec_lo, s3
	s_cbranch_vccnz .LBB0_9
	s_branch .LBB0_24
.LBB0_7:
                                        ; implicit-def: $vgpr2
                                        ; implicit-def: $vgpr0_vgpr1
	s_cbranch_execnz .LBB0_9
	s_branch .LBB0_24
.LBB0_8:
	s_or_b32 exec_lo, exec_lo, s2
	s_delay_alu instid0(SALU_CYCLE_1)
	s_and_b32 vcc_lo, exec_lo, s3
	s_cbranch_vccz .LBB0_24
.LBB0_9:
	v_lshrrev_b32_e32 v6, 6, v5
	v_mov_b32_e32 v8, 0
	s_lshl_b32 s14, s14, 6
	s_mov_b32 s17, exec_lo
	s_delay_alu instid0(VALU_DEP_2)
	v_cmpx_gt_i32_e64 s11, v6
	s_cbranch_execz .LBB0_19
; %bb.10:
	s_clause 0x2
	s_load_b128 s[20:23], s[0:1], 0x20
	s_load_b64 s[26:27], s[0:1], 0x18
	s_load_b64 s[28:29], s[0:1], 0x30
	v_lshrrev_b32_e32 v4, 6, v5
	s_mul_i32 s30, s9, s15
	s_mov_b32 s3, 0
	s_mov_b32 s2, s11
	v_and_or_b32 v7, v5, 63, s14
	v_mad_u64_u32 v[0:1], null, s6, v4, 0
	v_mov_b32_e32 v8, 0
	s_delay_alu instid0(VALU_DEP_2)
	v_mad_u64_u32 v[2:3], null, s7, v4, v[1:2]
	s_waitcnt lgkmcnt(0)
	s_mul_i32 s1, s15, s23
	s_mul_hi_u32 s9, s15, s22
	s_mul_i32 s0, s15, s22
	s_add_i32 s1, s9, s1
	s_mul_hi_u32 s23, s8, s15
	s_lshl_b64 s[0:1], s[0:1], 2
	s_mul_i32 s22, s8, s15
	s_add_u32 s15, s26, s0
	s_addc_u32 s1, s27, s1
	s_lshl_b64 s[8:9], s[20:21], 2
	v_mov_b32_e32 v1, v2
	s_add_u32 s15, s15, s8
	s_addc_u32 s20, s1, s9
	s_bitcmp1_b32 s10, 0
	v_cmp_gt_i32_e64 s0, s11, v7
	s_cselect_b32 s10, -1, 0
	s_lshl_b64 s[8:9], s[2:3], 1
	s_add_i32 s23, s23, s30
	v_lshlrev_b64 v[0:1], 2, v[0:1]
	s_lshl_b64 s[4:5], s[4:5], 2
	s_xor_b32 s2, s10, -1
	s_or_b32 s8, s8, 1
	s_lshl_b64 s[22:23], s[22:23], 2
	s_add_u32 s1, s28, s4
	s_addc_u32 s4, s29, s5
	s_add_u32 s1, s1, s22
	s_addc_u32 s4, s4, s23
	v_add_co_u32 v0, vcc_lo, s1, v0
	v_add_co_ci_u32_e32 v1, vcc_lo, s4, v1, vcc_lo
	s_lshl_b64 s[4:5], s[6:7], 6
	s_branch .LBB0_13
.LBB0_11:                               ;   in Loop: Header=BB0_13 Depth=1
	s_delay_alu instid0(VALU_DEP_2) | instskip(SKIP_3) | instid1(VALU_DEP_1)
	v_mul_lo_u32 v4, v4, v9
	v_mul_lo_u32 v12, v3, v10
	v_mad_u64_u32 v[10:11], null, v3, v9, 0
	v_ashrrev_i32_e32 v3, 31, v2
	v_lshlrev_b64 v[2:3], 2, v[2:3]
	s_delay_alu instid0(VALU_DEP_3) | instskip(NEXT) | instid1(VALU_DEP_1)
	v_add3_u32 v11, v11, v12, v4
	v_lshlrev_b64 v[9:10], 1, v[10:11]
	s_delay_alu instid0(VALU_DEP_1) | instskip(NEXT) | instid1(VALU_DEP_1)
	v_and_b32_e32 v4, -4, v9
	v_add_co_u32 v4, vcc_lo, s15, v4
	s_delay_alu instid0(VALU_DEP_3) | instskip(NEXT) | instid1(VALU_DEP_2)
	v_add_co_ci_u32_e32 v9, vcc_lo, s20, v10, vcc_lo
	v_add_co_u32 v2, vcc_lo, v4, v2
	s_delay_alu instid0(VALU_DEP_2)
	v_add_co_ci_u32_e32 v3, vcc_lo, v9, v3, vcc_lo
	global_load_b32 v2, v[2:3], off
	global_load_b32 v3, v[0:1], off
	s_waitcnt vmcnt(0)
	v_fmac_f32_e32 v8, v2, v3
.LBB0_12:                               ;   in Loop: Header=BB0_13 Depth=1
	s_or_b32 exec_lo, exec_lo, s6
	v_add_nc_u32_e32 v6, 16, v6
	v_add_co_u32 v0, s1, v0, s4
	s_delay_alu instid0(VALU_DEP_1) | instskip(NEXT) | instid1(VALU_DEP_3)
	v_add_co_ci_u32_e64 v1, s1, s5, v1, s1
	v_cmp_le_i32_e32 vcc_lo, s11, v6
	s_or_b32 s3, vcc_lo, s3
	s_delay_alu instid0(SALU_CYCLE_1)
	s_and_not1_b32 exec_lo, exec_lo, s3
	s_cbranch_execz .LBB0_18
.LBB0_13:                               ; =>This Inner Loop Header: Depth=1
	s_and_saveexec_b32 s6, s0
	s_cbranch_execz .LBB0_12
; %bb.14:                               ;   in Loop: Header=BB0_13 Depth=1
	v_cmp_le_i32_e32 vcc_lo, v7, v6
	v_cmp_ge_i32_e64 s1, v7, v6
	s_or_b32 s7, vcc_lo, s2
	s_delay_alu instid0(VALU_DEP_1) | instskip(NEXT) | instid1(SALU_CYCLE_1)
	s_or_b32 s1, s1, s10
	s_and_b32 vcc_lo, s7, s1
	s_mov_b32 s1, -1
	v_cndmask_b32_e32 v9, v7, v6, vcc_lo
	v_cndmask_b32_e32 v11, v6, v7, vcc_lo
	s_and_b32 vcc_lo, exec_lo, s2
	s_delay_alu instid0(VALU_DEP_2)
	v_ashrrev_i32_e32 v10, 31, v9
	s_cbranch_vccz .LBB0_16
; %bb.15:                               ;   in Loop: Header=BB0_13 Depth=1
	v_sub_co_u32 v3, vcc_lo, s8, v9
	s_delay_alu instid0(VALU_DEP_2)
	v_sub_co_ci_u32_e32 v4, vcc_lo, s9, v10, vcc_lo
	v_sub_nc_u32_e32 v2, v11, v9
	s_cbranch_execnz .LBB0_11
	s_branch .LBB0_17
.LBB0_16:                               ;   in Loop: Header=BB0_13 Depth=1
                                        ; implicit-def: $vgpr3_vgpr4
                                        ; implicit-def: $vgpr2
	s_and_not1_b32 vcc_lo, exec_lo, s1
	s_cbranch_vccnz .LBB0_11
.LBB0_17:                               ;   in Loop: Header=BB0_13 Depth=1
	v_add_co_u32 v3, vcc_lo, v9, 1
	v_add_co_ci_u32_e32 v4, vcc_lo, 0, v10, vcc_lo
	v_mov_b32_e32 v2, v11
	s_branch .LBB0_11
.LBB0_18:
	s_or_b32 exec_lo, exec_lo, s3
.LBB0_19:
	s_delay_alu instid0(SALU_CYCLE_1) | instskip(SKIP_3) | instid1(VALU_DEP_3)
	s_or_b32 exec_lo, exec_lo, s17
	v_add_nc_u32_e32 v4, s14, v5
	v_cmp_gt_u32_e32 vcc_lo, 64, v5
	v_lshlrev_b32_e32 v3, 2, v5
                                        ; implicit-def: $vgpr2
                                        ; implicit-def: $vgpr0_vgpr1
	v_cmp_gt_i32_e64 s0, s11, v4
	ds_store_b32 v3, v8
	s_waitcnt lgkmcnt(0)
	s_barrier
	s_and_b32 s1, vcc_lo, s0
	buffer_gl0_inv
	s_and_saveexec_b32 s0, s1
	s_cbranch_execz .LBB0_23
; %bb.20:
	ds_load_2addr_stride64_b32 v[0:1], v3 offset1:1
	ds_load_2addr_stride64_b32 v[5:6], v3 offset0:2 offset1:3
	ds_load_2addr_stride64_b32 v[7:8], v3 offset0:4 offset1:5
	ds_load_2addr_stride64_b32 v[9:10], v3 offset0:6 offset1:7
	v_cmp_eq_f32_e64 s1, s12, 0
	s_delay_alu instid0(VALU_DEP_1) | instskip(SKIP_3) | instid1(VALU_DEP_1)
	s_and_b32 vcc_lo, exec_lo, s1
	s_waitcnt lgkmcnt(3)
	v_add_f32_e32 v0, v0, v1
	s_waitcnt lgkmcnt(2)
	v_add_f32_e32 v0, v5, v0
	s_delay_alu instid0(VALU_DEP_1)
	v_add_f32_e32 v0, v6, v0
	ds_load_2addr_stride64_b32 v[5:6], v3 offset0:10 offset1:11
	s_waitcnt lgkmcnt(2)
	v_add_f32_e32 v2, v7, v0
	ds_load_2addr_stride64_b32 v[0:1], v3 offset0:8 offset1:9
	v_add_f32_e32 v2, v8, v2
	s_waitcnt lgkmcnt(2)
	s_delay_alu instid0(VALU_DEP_1) | instskip(NEXT) | instid1(VALU_DEP_1)
	v_add_f32_e32 v2, v9, v2
	v_add_f32_e32 v2, v10, v2
	ds_load_2addr_stride64_b32 v[7:8], v3 offset0:12 offset1:13
	ds_load_2addr_stride64_b32 v[9:10], v3 offset0:14 offset1:15
	s_waitcnt lgkmcnt(2)
	v_add_f32_e32 v0, v0, v2
	s_delay_alu instid0(VALU_DEP_1) | instskip(NEXT) | instid1(VALU_DEP_1)
	v_add_f32_e32 v0, v1, v0
	v_add_f32_e32 v0, v5, v0
	v_ashrrev_i32_e32 v5, 31, v4
	s_delay_alu instid0(VALU_DEP_2) | instskip(SKIP_2) | instid1(VALU_DEP_2)
	v_add_f32_e32 v0, v6, v0
	v_mul_lo_u32 v6, v4, s19
	s_waitcnt lgkmcnt(1)
	v_add_f32_e32 v0, v7, v0
	s_delay_alu instid0(VALU_DEP_1) | instskip(SKIP_3) | instid1(VALU_DEP_3)
	v_add_f32_e32 v2, v8, v0
	v_mad_u64_u32 v[0:1], null, v4, s18, 0
	v_mul_lo_u32 v4, v5, s18
	s_waitcnt lgkmcnt(0)
	v_add_f32_e32 v2, v9, v2
	s_delay_alu instid0(VALU_DEP_1) | instskip(NEXT) | instid1(VALU_DEP_3)
	v_add_f32_e32 v5, v10, v2
	v_add3_u32 v1, v1, v6, v4
	s_delay_alu instid0(VALU_DEP_2)
	v_mul_f32_e32 v2, s25, v5
	ds_store_b32 v3, v5
	s_cbranch_vccnz .LBB0_22
; %bb.21:
	v_lshlrev_b64 v[3:4], 2, v[0:1]
	s_delay_alu instid0(VALU_DEP_1) | instskip(NEXT) | instid1(VALU_DEP_2)
	v_add_co_u32 v3, vcc_lo, s13, v3
	v_add_co_ci_u32_e32 v4, vcc_lo, s16, v4, vcc_lo
	global_load_b32 v3, v[3:4], off
	s_waitcnt vmcnt(0)
	v_fmac_f32_e32 v2, s12, v3
.LBB0_22:
	s_or_b32 s24, s24, exec_lo
.LBB0_23:
	s_or_b32 exec_lo, exec_lo, s0
.LBB0_24:
	s_and_saveexec_b32 s0, s24
	s_cbranch_execz .LBB0_26
; %bb.25:
	v_lshlrev_b64 v[0:1], 2, v[0:1]
	s_delay_alu instid0(VALU_DEP_1) | instskip(NEXT) | instid1(VALU_DEP_2)
	v_add_co_u32 v0, vcc_lo, s13, v0
	v_add_co_ci_u32_e32 v1, vcc_lo, s16, v1, vcc_lo
	global_store_b32 v[0:1], v2, off
.LBB0_26:
	s_nop 0
	s_sendmsg sendmsg(MSG_DEALLOC_VGPRS)
	s_endpgm
	.section	.rodata,"a",@progbits
	.p2align	6, 0x0
	.amdhsa_kernel _ZL19rocblas_spmv_kernelILi64ELi16EPKfS1_PfEvbiT1_lT2_llS4_lllS3_lT3_llli
		.amdhsa_group_segment_fixed_size 4096
		.amdhsa_private_segment_fixed_size 0
		.amdhsa_kernarg_size 392
		.amdhsa_user_sgpr_count 14
		.amdhsa_user_sgpr_dispatch_ptr 0
		.amdhsa_user_sgpr_queue_ptr 0
		.amdhsa_user_sgpr_kernarg_segment_ptr 1
		.amdhsa_user_sgpr_dispatch_id 0
		.amdhsa_user_sgpr_private_segment_size 0
		.amdhsa_wavefront_size32 1
		.amdhsa_uses_dynamic_stack 0
		.amdhsa_enable_private_segment 0
		.amdhsa_system_sgpr_workgroup_id_x 1
		.amdhsa_system_sgpr_workgroup_id_y 0
		.amdhsa_system_sgpr_workgroup_id_z 1
		.amdhsa_system_sgpr_workgroup_info 0
		.amdhsa_system_vgpr_workitem_id 1
		.amdhsa_next_free_vgpr 13
		.amdhsa_next_free_sgpr 31
		.amdhsa_reserve_vcc 1
		.amdhsa_float_round_mode_32 0
		.amdhsa_float_round_mode_16_64 0
		.amdhsa_float_denorm_mode_32 3
		.amdhsa_float_denorm_mode_16_64 3
		.amdhsa_dx10_clamp 1
		.amdhsa_ieee_mode 1
		.amdhsa_fp16_overflow 0
		.amdhsa_workgroup_processor_mode 1
		.amdhsa_memory_ordered 1
		.amdhsa_forward_progress 0
		.amdhsa_shared_vgpr_count 0
		.amdhsa_exception_fp_ieee_invalid_op 0
		.amdhsa_exception_fp_denorm_src 0
		.amdhsa_exception_fp_ieee_div_zero 0
		.amdhsa_exception_fp_ieee_overflow 0
		.amdhsa_exception_fp_ieee_underflow 0
		.amdhsa_exception_fp_ieee_inexact 0
		.amdhsa_exception_int_div_zero 0
	.end_amdhsa_kernel
	.section	.text._ZL19rocblas_spmv_kernelILi64ELi16EPKfS1_PfEvbiT1_lT2_llS4_lllS3_lT3_llli,"axG",@progbits,_ZL19rocblas_spmv_kernelILi64ELi16EPKfS1_PfEvbiT1_lT2_llS4_lllS3_lT3_llli,comdat
.Lfunc_end0:
	.size	_ZL19rocblas_spmv_kernelILi64ELi16EPKfS1_PfEvbiT1_lT2_llS4_lllS3_lT3_llli, .Lfunc_end0-_ZL19rocblas_spmv_kernelILi64ELi16EPKfS1_PfEvbiT1_lT2_llS4_lllS3_lT3_llli
                                        ; -- End function
	.section	.AMDGPU.csdata,"",@progbits
; Kernel info:
; codeLenInByte = 1484
; NumSgprs: 33
; NumVgprs: 13
; ScratchSize: 0
; MemoryBound: 0
; FloatMode: 240
; IeeeMode: 1
; LDSByteSize: 4096 bytes/workgroup (compile time only)
; SGPRBlocks: 4
; VGPRBlocks: 1
; NumSGPRsForWavesPerEU: 33
; NumVGPRsForWavesPerEU: 13
; Occupancy: 16
; WaveLimiterHint : 1
; COMPUTE_PGM_RSRC2:SCRATCH_EN: 0
; COMPUTE_PGM_RSRC2:USER_SGPR: 14
; COMPUTE_PGM_RSRC2:TRAP_HANDLER: 0
; COMPUTE_PGM_RSRC2:TGID_X_EN: 1
; COMPUTE_PGM_RSRC2:TGID_Y_EN: 0
; COMPUTE_PGM_RSRC2:TGID_Z_EN: 1
; COMPUTE_PGM_RSRC2:TIDIG_COMP_CNT: 1
	.section	.text._ZL19rocblas_spmv_kernelILi64ELi16EfPKfPfEvbiT1_lT2_llS4_lllS3_lT3_llli,"axG",@progbits,_ZL19rocblas_spmv_kernelILi64ELi16EfPKfPfEvbiT1_lT2_llS4_lllS3_lT3_llli,comdat
	.globl	_ZL19rocblas_spmv_kernelILi64ELi16EfPKfPfEvbiT1_lT2_llS4_lllS3_lT3_llli ; -- Begin function _ZL19rocblas_spmv_kernelILi64ELi16EfPKfPfEvbiT1_lT2_llS4_lllS3_lT3_llli
	.p2align	8
	.type	_ZL19rocblas_spmv_kernelILi64ELi16EfPKfPfEvbiT1_lT2_llS4_lllS3_lT3_llli,@function
_ZL19rocblas_spmv_kernelILi64ELi16EfPKfPfEvbiT1_lT2_llS4_lllS3_lT3_llli: ; @_ZL19rocblas_spmv_kernelILi64ELi16EfPKfPfEvbiT1_lT2_llS4_lllS3_lT3_llli
; %bb.0:
	s_load_b64 s[2:3], s[0:1], 0x94
	s_waitcnt lgkmcnt(0)
	s_lshr_b32 s4, s2, 16
	s_and_b32 s2, s2, 0xffff
	s_and_b32 s3, s3, 0xffff
	s_mul_i32 s4, s4, s2
	s_delay_alu instid0(SALU_CYCLE_1) | instskip(NEXT) | instid1(SALU_CYCLE_1)
	s_mul_i32 s4, s4, s3
	s_cmpk_lg_i32 s4, 0x400
	s_cbranch_scc1 .LBB1_26
; %bb.1:
	s_load_b128 s[4:7], s[0:1], 0x0
	s_waitcnt lgkmcnt(0)
	s_load_b32 s7, s[0:1], 0x50
	s_mov_b32 s26, 0
	v_cmp_eq_f32_e64 s3, s6, 0
	s_waitcnt lgkmcnt(0)
	v_cmp_eq_f32_e64 s8, s7, 1.0
	s_delay_alu instid0(VALU_DEP_1) | instskip(NEXT) | instid1(SALU_CYCLE_1)
	s_and_b32 s3, s3, s8
	s_and_b32 vcc_lo, exec_lo, s3
	s_cbranch_vccnz .LBB1_26
; %bb.2:
	s_clause 0x2
	s_load_b64 s[12:13], s[0:1], 0x78
	s_load_b64 s[16:17], s[0:1], 0x60
	s_load_b128 s[8:11], s[0:1], 0x68
	v_and_b32_e32 v1, 0x3ff, v0
	v_bfe_u32 v0, v0, 10, 10
	v_cmp_neq_f32_e64 s18, s6, 0
	s_delay_alu instid0(VALU_DEP_2)
	v_mad_u32_u24 v5, v0, s2, v1
	s_waitcnt lgkmcnt(0)
	s_mul_i32 s3, s15, s13
	s_mul_hi_u32 s13, s15, s12
	s_mul_i32 s12, s15, s12
	s_add_i32 s13, s13, s3
	s_delay_alu instid0(SALU_CYCLE_1) | instskip(NEXT) | instid1(SALU_CYCLE_1)
	s_lshl_b64 s[12:13], s[12:13], 2
	s_add_u32 s12, s16, s12
	s_addc_u32 s13, s17, s13
	s_lshl_b64 s[2:3], s[8:9], 2
	s_delay_alu instid0(SALU_CYCLE_1)
	s_add_u32 s24, s12, s2
	v_cmp_gt_u32_e64 s2, 64, v5
	s_addc_u32 s25, s13, s3
	s_and_b32 vcc_lo, exec_lo, s18
	s_cbranch_vccnz .LBB1_7
; %bb.3:
	v_lshl_add_u32 v3, s14, 6, v5
	s_mov_b32 s3, 0
                                        ; implicit-def: $vgpr2
                                        ; implicit-def: $vgpr0_vgpr1
	s_delay_alu instid0(VALU_DEP_1) | instskip(SKIP_1) | instid1(SALU_CYCLE_1)
	v_cmp_gt_i32_e32 vcc_lo, s5, v3
	s_and_b32 s8, s2, vcc_lo
	s_and_saveexec_b32 s2, s8
	s_cbranch_execz .LBB1_8
; %bb.4:
	v_ashrrev_i32_e32 v2, 31, v3
	v_mul_lo_u32 v4, v3, s11
	v_mad_u64_u32 v[0:1], null, v3, s10, 0
	v_cmp_eq_f32_e64 s8, s7, 0
	s_delay_alu instid0(VALU_DEP_4) | instskip(NEXT) | instid1(VALU_DEP_2)
	v_mul_lo_u32 v2, v2, s10
	s_and_b32 vcc_lo, exec_lo, s8
	s_delay_alu instid0(VALU_DEP_1)
	v_add3_u32 v1, v1, v4, v2
	v_mov_b32_e32 v2, 0
	s_cbranch_vccnz .LBB1_6
; %bb.5:
	s_delay_alu instid0(VALU_DEP_2) | instskip(NEXT) | instid1(VALU_DEP_1)
	v_lshlrev_b64 v[2:3], 2, v[0:1]
	v_add_co_u32 v2, vcc_lo, s24, v2
	s_delay_alu instid0(VALU_DEP_2)
	v_add_co_ci_u32_e32 v3, vcc_lo, s25, v3, vcc_lo
	global_load_b32 v2, v[2:3], off
	s_waitcnt vmcnt(0)
	v_mul_f32_e32 v2, s7, v2
.LBB1_6:
	s_mov_b32 s26, exec_lo
	s_or_b32 exec_lo, exec_lo, s2
	s_delay_alu instid0(SALU_CYCLE_1)
	s_and_b32 vcc_lo, exec_lo, s3
	s_cbranch_vccnz .LBB1_9
	s_branch .LBB1_24
.LBB1_7:
                                        ; implicit-def: $vgpr2
                                        ; implicit-def: $vgpr0_vgpr1
	s_cbranch_execnz .LBB1_9
	s_branch .LBB1_24
.LBB1_8:
	s_or_b32 exec_lo, exec_lo, s2
	s_delay_alu instid0(SALU_CYCLE_1)
	s_and_b32 vcc_lo, exec_lo, s3
	s_cbranch_vccz .LBB1_24
.LBB1_9:
	v_lshrrev_b32_e32 v6, 6, v5
	v_mov_b32_e32 v8, 0
	s_lshl_b32 s14, s14, 6
	s_mov_b32 s27, exec_lo
	s_delay_alu instid0(VALU_DEP_2)
	v_cmpx_gt_i32_e64 s5, v6
	s_cbranch_execz .LBB1_19
; %bb.10:
	s_clause 0x3
	s_load_b128 s[16:19], s[0:1], 0x38
	s_load_b128 s[20:23], s[0:1], 0x20
	s_load_b64 s[8:9], s[0:1], 0x48
	s_load_b64 s[12:13], s[0:1], 0x18
	v_lshrrev_b32_e32 v4, 6, v5
	s_load_b64 s[28:29], s[0:1], 0x30
	s_mov_b32 s3, 0
	s_mov_b32 s2, s5
	v_and_or_b32 v7, v5, 63, s14
	v_mov_b32_e32 v8, 0
	s_delay_alu instid0(VALU_DEP_2)
	v_cmp_gt_i32_e64 s0, s5, v7
	s_waitcnt lgkmcnt(0)
	v_mad_u64_u32 v[0:1], null, s18, v4, 0
	s_mul_i32 s1, s15, s23
	s_mul_hi_u32 s23, s15, s22
	s_mul_i32 s22, s15, s22
	s_add_i32 s23, s23, s1
	s_mul_i32 s30, s9, s15
	s_lshl_b64 s[22:23], s[22:23], 2
	s_delay_alu instid0(VALU_DEP_1)
	v_mad_u64_u32 v[2:3], null, s19, v4, v[1:2]
	s_add_u32 s9, s12, s22
	s_addc_u32 s22, s13, s23
	s_lshl_b64 s[12:13], s[20:21], 2
	s_mul_hi_u32 s1, s8, s15
	s_add_u32 s20, s9, s12
	s_addc_u32 s21, s22, s13
	s_delay_alu instid0(VALU_DEP_1)
	v_mov_b32_e32 v1, v2
	s_bitcmp1_b32 s4, 0
	s_mul_i32 s12, s8, s15
	s_cselect_b32 s4, -1, 0
	s_lshl_b64 s[8:9], s[2:3], 1
	s_add_i32 s13, s1, s30
	s_lshl_b64 s[16:17], s[16:17], 2
	v_lshlrev_b64 v[0:1], 2, v[0:1]
	s_xor_b32 s2, s4, -1
	s_or_b32 s8, s8, 1
	s_lshl_b64 s[12:13], s[12:13], 2
	s_add_u32 s1, s28, s16
	s_addc_u32 s15, s29, s17
	s_add_u32 s1, s1, s12
	s_addc_u32 s12, s15, s13
	v_add_co_u32 v0, vcc_lo, s1, v0
	v_add_co_ci_u32_e32 v1, vcc_lo, s12, v1, vcc_lo
	s_lshl_b64 s[12:13], s[18:19], 6
	s_branch .LBB1_13
.LBB1_11:                               ;   in Loop: Header=BB1_13 Depth=1
	s_delay_alu instid0(VALU_DEP_2) | instskip(SKIP_3) | instid1(VALU_DEP_1)
	v_mul_lo_u32 v4, v4, v9
	v_mul_lo_u32 v12, v3, v10
	v_mad_u64_u32 v[10:11], null, v3, v9, 0
	v_ashrrev_i32_e32 v3, 31, v2
	v_lshlrev_b64 v[2:3], 2, v[2:3]
	s_delay_alu instid0(VALU_DEP_3) | instskip(NEXT) | instid1(VALU_DEP_1)
	v_add3_u32 v11, v11, v12, v4
	v_lshlrev_b64 v[9:10], 1, v[10:11]
	s_delay_alu instid0(VALU_DEP_1) | instskip(NEXT) | instid1(VALU_DEP_1)
	v_and_b32_e32 v4, -4, v9
	v_add_co_u32 v4, vcc_lo, s20, v4
	s_delay_alu instid0(VALU_DEP_3) | instskip(NEXT) | instid1(VALU_DEP_2)
	v_add_co_ci_u32_e32 v9, vcc_lo, s21, v10, vcc_lo
	v_add_co_u32 v2, vcc_lo, v4, v2
	s_delay_alu instid0(VALU_DEP_2)
	v_add_co_ci_u32_e32 v3, vcc_lo, v9, v3, vcc_lo
	global_load_b32 v2, v[2:3], off
	global_load_b32 v3, v[0:1], off
	s_waitcnt vmcnt(0)
	v_fmac_f32_e32 v8, v2, v3
.LBB1_12:                               ;   in Loop: Header=BB1_13 Depth=1
	s_or_b32 exec_lo, exec_lo, s15
	v_add_nc_u32_e32 v6, 16, v6
	v_add_co_u32 v0, s1, v0, s12
	s_delay_alu instid0(VALU_DEP_1) | instskip(NEXT) | instid1(VALU_DEP_3)
	v_add_co_ci_u32_e64 v1, s1, s13, v1, s1
	v_cmp_le_i32_e32 vcc_lo, s5, v6
	s_or_b32 s3, vcc_lo, s3
	s_delay_alu instid0(SALU_CYCLE_1)
	s_and_not1_b32 exec_lo, exec_lo, s3
	s_cbranch_execz .LBB1_18
.LBB1_13:                               ; =>This Inner Loop Header: Depth=1
	s_and_saveexec_b32 s15, s0
	s_cbranch_execz .LBB1_12
; %bb.14:                               ;   in Loop: Header=BB1_13 Depth=1
	v_cmp_le_i32_e32 vcc_lo, v7, v6
	v_cmp_ge_i32_e64 s1, v7, v6
	s_or_b32 s16, vcc_lo, s2
	s_delay_alu instid0(VALU_DEP_1) | instskip(NEXT) | instid1(SALU_CYCLE_1)
	s_or_b32 s1, s1, s4
	s_and_b32 vcc_lo, s16, s1
	s_mov_b32 s1, -1
	v_cndmask_b32_e32 v9, v7, v6, vcc_lo
	v_cndmask_b32_e32 v11, v6, v7, vcc_lo
	s_and_b32 vcc_lo, exec_lo, s2
	s_delay_alu instid0(VALU_DEP_2)
	v_ashrrev_i32_e32 v10, 31, v9
	s_cbranch_vccz .LBB1_16
; %bb.15:                               ;   in Loop: Header=BB1_13 Depth=1
	v_sub_co_u32 v3, vcc_lo, s8, v9
	s_delay_alu instid0(VALU_DEP_2)
	v_sub_co_ci_u32_e32 v4, vcc_lo, s9, v10, vcc_lo
	v_sub_nc_u32_e32 v2, v11, v9
	s_cbranch_execnz .LBB1_11
	s_branch .LBB1_17
.LBB1_16:                               ;   in Loop: Header=BB1_13 Depth=1
                                        ; implicit-def: $vgpr3_vgpr4
                                        ; implicit-def: $vgpr2
	s_and_not1_b32 vcc_lo, exec_lo, s1
	s_cbranch_vccnz .LBB1_11
.LBB1_17:                               ;   in Loop: Header=BB1_13 Depth=1
	v_add_co_u32 v3, vcc_lo, v9, 1
	v_add_co_ci_u32_e32 v4, vcc_lo, 0, v10, vcc_lo
	v_mov_b32_e32 v2, v11
	s_branch .LBB1_11
.LBB1_18:
	s_or_b32 exec_lo, exec_lo, s3
.LBB1_19:
	s_delay_alu instid0(SALU_CYCLE_1) | instskip(SKIP_3) | instid1(VALU_DEP_3)
	s_or_b32 exec_lo, exec_lo, s27
	v_add_nc_u32_e32 v4, s14, v5
	v_cmp_gt_u32_e32 vcc_lo, 64, v5
	v_lshlrev_b32_e32 v3, 2, v5
                                        ; implicit-def: $vgpr2
                                        ; implicit-def: $vgpr0_vgpr1
	v_cmp_gt_i32_e64 s0, s5, v4
	ds_store_b32 v3, v8
	s_waitcnt lgkmcnt(0)
	s_barrier
	s_and_b32 s1, vcc_lo, s0
	buffer_gl0_inv
	s_and_saveexec_b32 s0, s1
	s_cbranch_execz .LBB1_23
; %bb.20:
	ds_load_2addr_stride64_b32 v[0:1], v3 offset1:1
	ds_load_2addr_stride64_b32 v[5:6], v3 offset0:2 offset1:3
	ds_load_2addr_stride64_b32 v[7:8], v3 offset0:4 offset1:5
	ds_load_2addr_stride64_b32 v[9:10], v3 offset0:6 offset1:7
	v_cmp_eq_f32_e64 s1, s7, 0
	s_delay_alu instid0(VALU_DEP_1) | instskip(SKIP_3) | instid1(VALU_DEP_1)
	s_and_b32 vcc_lo, exec_lo, s1
	s_waitcnt lgkmcnt(3)
	v_add_f32_e32 v0, v0, v1
	s_waitcnt lgkmcnt(2)
	v_add_f32_e32 v0, v5, v0
	s_delay_alu instid0(VALU_DEP_1)
	v_add_f32_e32 v0, v6, v0
	ds_load_2addr_stride64_b32 v[5:6], v3 offset0:10 offset1:11
	s_waitcnt lgkmcnt(2)
	v_add_f32_e32 v2, v7, v0
	ds_load_2addr_stride64_b32 v[0:1], v3 offset0:8 offset1:9
	v_add_f32_e32 v2, v8, v2
	s_waitcnt lgkmcnt(2)
	s_delay_alu instid0(VALU_DEP_1) | instskip(NEXT) | instid1(VALU_DEP_1)
	v_add_f32_e32 v2, v9, v2
	v_add_f32_e32 v2, v10, v2
	ds_load_2addr_stride64_b32 v[7:8], v3 offset0:12 offset1:13
	ds_load_2addr_stride64_b32 v[9:10], v3 offset0:14 offset1:15
	s_waitcnt lgkmcnt(2)
	v_add_f32_e32 v0, v0, v2
	s_delay_alu instid0(VALU_DEP_1) | instskip(NEXT) | instid1(VALU_DEP_1)
	v_add_f32_e32 v0, v1, v0
	v_add_f32_e32 v0, v5, v0
	v_ashrrev_i32_e32 v5, 31, v4
	s_delay_alu instid0(VALU_DEP_2) | instskip(SKIP_2) | instid1(VALU_DEP_2)
	v_add_f32_e32 v0, v6, v0
	v_mul_lo_u32 v6, v4, s11
	s_waitcnt lgkmcnt(1)
	v_add_f32_e32 v0, v7, v0
	s_delay_alu instid0(VALU_DEP_1) | instskip(SKIP_3) | instid1(VALU_DEP_3)
	v_add_f32_e32 v2, v8, v0
	v_mad_u64_u32 v[0:1], null, v4, s10, 0
	v_mul_lo_u32 v4, v5, s10
	s_waitcnt lgkmcnt(0)
	v_add_f32_e32 v2, v9, v2
	s_delay_alu instid0(VALU_DEP_1) | instskip(NEXT) | instid1(VALU_DEP_3)
	v_add_f32_e32 v5, v10, v2
	v_add3_u32 v1, v1, v6, v4
	s_delay_alu instid0(VALU_DEP_2)
	v_mul_f32_e32 v2, s6, v5
	ds_store_b32 v3, v5
	s_cbranch_vccnz .LBB1_22
; %bb.21:
	v_lshlrev_b64 v[3:4], 2, v[0:1]
	s_delay_alu instid0(VALU_DEP_1) | instskip(NEXT) | instid1(VALU_DEP_2)
	v_add_co_u32 v3, vcc_lo, s24, v3
	v_add_co_ci_u32_e32 v4, vcc_lo, s25, v4, vcc_lo
	global_load_b32 v3, v[3:4], off
	s_waitcnt vmcnt(0)
	v_fmac_f32_e32 v2, s7, v3
.LBB1_22:
	s_or_b32 s26, s26, exec_lo
.LBB1_23:
	s_or_b32 exec_lo, exec_lo, s0
.LBB1_24:
	s_and_saveexec_b32 s0, s26
	s_cbranch_execz .LBB1_26
; %bb.25:
	v_lshlrev_b64 v[0:1], 2, v[0:1]
	s_delay_alu instid0(VALU_DEP_1) | instskip(NEXT) | instid1(VALU_DEP_2)
	v_add_co_u32 v0, vcc_lo, s24, v0
	v_add_co_ci_u32_e32 v1, vcc_lo, s25, v1, vcc_lo
	global_store_b32 v[0:1], v2, off
.LBB1_26:
	s_nop 0
	s_sendmsg sendmsg(MSG_DEALLOC_VGPRS)
	s_endpgm
	.section	.rodata,"a",@progbits
	.p2align	6, 0x0
	.amdhsa_kernel _ZL19rocblas_spmv_kernelILi64ELi16EfPKfPfEvbiT1_lT2_llS4_lllS3_lT3_llli
		.amdhsa_group_segment_fixed_size 4096
		.amdhsa_private_segment_fixed_size 0
		.amdhsa_kernarg_size 392
		.amdhsa_user_sgpr_count 14
		.amdhsa_user_sgpr_dispatch_ptr 0
		.amdhsa_user_sgpr_queue_ptr 0
		.amdhsa_user_sgpr_kernarg_segment_ptr 1
		.amdhsa_user_sgpr_dispatch_id 0
		.amdhsa_user_sgpr_private_segment_size 0
		.amdhsa_wavefront_size32 1
		.amdhsa_uses_dynamic_stack 0
		.amdhsa_enable_private_segment 0
		.amdhsa_system_sgpr_workgroup_id_x 1
		.amdhsa_system_sgpr_workgroup_id_y 0
		.amdhsa_system_sgpr_workgroup_id_z 1
		.amdhsa_system_sgpr_workgroup_info 0
		.amdhsa_system_vgpr_workitem_id 1
		.amdhsa_next_free_vgpr 13
		.amdhsa_next_free_sgpr 31
		.amdhsa_reserve_vcc 1
		.amdhsa_float_round_mode_32 0
		.amdhsa_float_round_mode_16_64 0
		.amdhsa_float_denorm_mode_32 3
		.amdhsa_float_denorm_mode_16_64 3
		.amdhsa_dx10_clamp 1
		.amdhsa_ieee_mode 1
		.amdhsa_fp16_overflow 0
		.amdhsa_workgroup_processor_mode 1
		.amdhsa_memory_ordered 1
		.amdhsa_forward_progress 0
		.amdhsa_shared_vgpr_count 0
		.amdhsa_exception_fp_ieee_invalid_op 0
		.amdhsa_exception_fp_denorm_src 0
		.amdhsa_exception_fp_ieee_div_zero 0
		.amdhsa_exception_fp_ieee_overflow 0
		.amdhsa_exception_fp_ieee_underflow 0
		.amdhsa_exception_fp_ieee_inexact 0
		.amdhsa_exception_int_div_zero 0
	.end_amdhsa_kernel
	.section	.text._ZL19rocblas_spmv_kernelILi64ELi16EfPKfPfEvbiT1_lT2_llS4_lllS3_lT3_llli,"axG",@progbits,_ZL19rocblas_spmv_kernelILi64ELi16EfPKfPfEvbiT1_lT2_llS4_lllS3_lT3_llli,comdat
.Lfunc_end1:
	.size	_ZL19rocblas_spmv_kernelILi64ELi16EfPKfPfEvbiT1_lT2_llS4_lllS3_lT3_llli, .Lfunc_end1-_ZL19rocblas_spmv_kernelILi64ELi16EfPKfPfEvbiT1_lT2_llS4_lllS3_lT3_llli
                                        ; -- End function
	.section	.AMDGPU.csdata,"",@progbits
; Kernel info:
; codeLenInByte = 1412
; NumSgprs: 33
; NumVgprs: 13
; ScratchSize: 0
; MemoryBound: 0
; FloatMode: 240
; IeeeMode: 1
; LDSByteSize: 4096 bytes/workgroup (compile time only)
; SGPRBlocks: 4
; VGPRBlocks: 1
; NumSGPRsForWavesPerEU: 33
; NumVGPRsForWavesPerEU: 13
; Occupancy: 16
; WaveLimiterHint : 1
; COMPUTE_PGM_RSRC2:SCRATCH_EN: 0
; COMPUTE_PGM_RSRC2:USER_SGPR: 14
; COMPUTE_PGM_RSRC2:TRAP_HANDLER: 0
; COMPUTE_PGM_RSRC2:TGID_X_EN: 1
; COMPUTE_PGM_RSRC2:TGID_Y_EN: 0
; COMPUTE_PGM_RSRC2:TGID_Z_EN: 1
; COMPUTE_PGM_RSRC2:TIDIG_COMP_CNT: 1
	.section	.text._ZL19rocblas_spmv_kernelILi64ELi16EPKdS1_PdEvbiT1_lT2_llS4_lllS3_lT3_llli,"axG",@progbits,_ZL19rocblas_spmv_kernelILi64ELi16EPKdS1_PdEvbiT1_lT2_llS4_lllS3_lT3_llli,comdat
	.globl	_ZL19rocblas_spmv_kernelILi64ELi16EPKdS1_PdEvbiT1_lT2_llS4_lllS3_lT3_llli ; -- Begin function _ZL19rocblas_spmv_kernelILi64ELi16EPKdS1_PdEvbiT1_lT2_llS4_lllS3_lT3_llli
	.p2align	8
	.type	_ZL19rocblas_spmv_kernelILi64ELi16EPKdS1_PdEvbiT1_lT2_llS4_lllS3_lT3_llli,@function
_ZL19rocblas_spmv_kernelILi64ELi16EPKdS1_PdEvbiT1_lT2_llS4_lllS3_lT3_llli: ; @_ZL19rocblas_spmv_kernelILi64ELi16EPKdS1_PdEvbiT1_lT2_llS4_lllS3_lT3_llli
; %bb.0:
	s_load_b64 s[2:3], s[0:1], 0x94
	s_waitcnt lgkmcnt(0)
	s_lshr_b32 s4, s2, 16
	s_and_b32 s2, s2, 0xffff
	s_and_b32 s3, s3, 0xffff
	s_mul_i32 s4, s4, s2
	s_delay_alu instid0(SALU_CYCLE_1) | instskip(NEXT) | instid1(SALU_CYCLE_1)
	s_mul_i32 s4, s4, s3
	s_cmpk_lg_i32 s4, 0x400
	s_cbranch_scc1 .LBB2_26
; %bb.1:
	s_clause 0x2
	s_load_b128 s[16:19], s[0:1], 0x8
	s_load_b64 s[12:13], s[0:1], 0x58
	s_load_b256 s[4:11], s[0:1], 0x38
	s_waitcnt lgkmcnt(0)
	s_mul_i32 s3, s15, s19
	s_mul_hi_u32 s19, s15, s18
	s_mul_i32 s18, s15, s18
	s_add_i32 s19, s19, s3
	s_mul_i32 s3, s15, s13
	s_lshl_b64 s[18:19], s[18:19], 3
	s_mul_hi_u32 s13, s15, s12
	s_add_u32 s16, s16, s18
	s_addc_u32 s17, s17, s19
	s_add_i32 s13, s13, s3
	s_mul_i32 s12, s15, s12
	s_delay_alu instid0(SALU_CYCLE_1) | instskip(NEXT) | instid1(SALU_CYCLE_1)
	s_lshl_b64 s[12:13], s[12:13], 3
	s_add_u32 s10, s10, s12
	s_addc_u32 s11, s11, s13
	s_load_b64 s[12:13], s[16:17], 0x0
	s_load_b64 s[10:11], s[10:11], 0x0
	s_waitcnt lgkmcnt(0)
	v_cmp_eq_f64_e64 s3, s[12:13], 0
	v_cmp_eq_f64_e64 s16, s[10:11], 1.0
	s_delay_alu instid0(VALU_DEP_1) | instskip(NEXT) | instid1(SALU_CYCLE_1)
	s_and_b32 s3, s3, s16
	s_and_b32 vcc_lo, exec_lo, s3
	s_cbranch_vccnz .LBB2_26
; %bb.2:
	v_cmp_neq_f64_e64 s26, s[12:13], 0
	s_clause 0x3
	s_load_b64 s[20:21], s[0:1], 0x78
	s_load_b64 s[22:23], s[0:1], 0x60
	s_load_b128 s[16:19], s[0:1], 0x68
	s_load_b64 s[24:25], s[0:1], 0x0
	v_and_b32_e32 v1, 0x3ff, v0
	v_bfe_u32 v0, v0, 10, 10
	s_delay_alu instid0(VALU_DEP_1)
	v_mad_u32_u24 v7, v0, s2, v1
	s_waitcnt lgkmcnt(0)
	s_mul_i32 s3, s15, s21
	s_mul_hi_u32 s21, s15, s20
	s_mul_i32 s20, s15, s20
	s_add_i32 s21, s21, s3
	s_delay_alu instid0(SALU_CYCLE_1) | instskip(NEXT) | instid1(SALU_CYCLE_1)
	s_lshl_b64 s[20:21], s[20:21], 3
	s_add_u32 s20, s22, s20
	s_addc_u32 s21, s23, s21
	s_lshl_b64 s[2:3], s[16:17], 3
	s_delay_alu instid0(SALU_CYCLE_1)
	s_add_u32 s16, s20, s2
	v_cmp_gt_u32_e64 s2, 64, v7
	s_addc_u32 s17, s21, s3
	s_and_b32 vcc_lo, exec_lo, s26
	s_mov_b32 s26, 0
	s_cbranch_vccnz .LBB2_7
; %bb.3:
	v_lshl_add_u32 v4, s14, 6, v7
	s_mov_b32 s3, 0
                                        ; implicit-def: $vgpr2_vgpr3
                                        ; implicit-def: $vgpr0_vgpr1
	s_delay_alu instid0(VALU_DEP_1) | instskip(SKIP_1) | instid1(SALU_CYCLE_1)
	v_cmp_gt_i32_e32 vcc_lo, s25, v4
	s_and_b32 s20, s2, vcc_lo
	s_and_saveexec_b32 s2, s20
	s_cbranch_execz .LBB2_8
; %bb.4:
	v_cmp_eq_f64_e64 s20, s[10:11], 0
	v_ashrrev_i32_e32 v0, 31, v4
	v_mul_lo_u32 v2, v4, s19
	s_delay_alu instid0(VALU_DEP_2) | instskip(SKIP_1) | instid1(VALU_DEP_1)
	v_mul_lo_u32 v3, v0, s18
	v_mad_u64_u32 v[0:1], null, v4, s18, 0
	v_add3_u32 v1, v1, v2, v3
	v_mov_b32_e32 v2, 0
	v_mov_b32_e32 v3, 0
	s_and_b32 vcc_lo, exec_lo, s20
	s_cbranch_vccnz .LBB2_6
; %bb.5:
	s_delay_alu instid0(VALU_DEP_4) | instskip(NEXT) | instid1(VALU_DEP_1)
	v_lshlrev_b64 v[2:3], 3, v[0:1]
	v_add_co_u32 v2, vcc_lo, s16, v2
	s_delay_alu instid0(VALU_DEP_2)
	v_add_co_ci_u32_e32 v3, vcc_lo, s17, v3, vcc_lo
	global_load_b64 v[2:3], v[2:3], off
	s_waitcnt vmcnt(0)
	v_mul_f64 v[2:3], s[10:11], v[2:3]
.LBB2_6:
	s_mov_b32 s26, exec_lo
	s_or_b32 exec_lo, exec_lo, s2
	s_delay_alu instid0(SALU_CYCLE_1)
	s_and_b32 vcc_lo, exec_lo, s3
	s_cbranch_vccnz .LBB2_9
	s_branch .LBB2_24
.LBB2_7:
                                        ; implicit-def: $vgpr2_vgpr3
                                        ; implicit-def: $vgpr0_vgpr1
	s_cbranch_execnz .LBB2_9
	s_branch .LBB2_24
.LBB2_8:
	s_or_b32 exec_lo, exec_lo, s2
	s_delay_alu instid0(SALU_CYCLE_1)
	s_and_b32 vcc_lo, exec_lo, s3
	s_cbranch_vccz .LBB2_24
.LBB2_9:
	v_mov_b32_e32 v0, 0
	v_lshrrev_b32_e32 v8, 6, v7
	v_mov_b32_e32 v1, 0
	s_lshl_b32 s14, s14, 6
	s_mov_b32 s27, exec_lo
	s_delay_alu instid0(VALU_DEP_2)
	v_cmpx_gt_i32_e64 s25, v8
	s_cbranch_execz .LBB2_19
; %bb.10:
	s_clause 0x2
	s_load_b128 s[20:23], s[0:1], 0x20
	s_load_b64 s[28:29], s[0:1], 0x18
	s_load_b64 s[30:31], s[0:1], 0x30
	v_lshrrev_b32_e32 v4, 6, v7
	s_mul_i32 s33, s9, s15
	s_mov_b32 s3, 0
	s_mov_b32 s2, s25
	v_and_or_b32 v9, v7, 63, s14
	v_mad_u64_u32 v[0:1], null, s6, v4, 0
	s_delay_alu instid0(VALU_DEP_1)
	v_mad_u64_u32 v[2:3], null, s7, v4, v[1:2]
	s_waitcnt lgkmcnt(0)
	s_mul_i32 s1, s15, s23
	s_mul_hi_u32 s9, s15, s22
	s_mul_i32 s0, s15, s22
	s_add_i32 s1, s9, s1
	s_mul_hi_u32 s23, s8, s15
	s_lshl_b64 s[0:1], s[0:1], 3
	s_mul_i32 s22, s8, s15
	s_add_u32 s15, s28, s0
	s_addc_u32 s1, s29, s1
	s_lshl_b64 s[8:9], s[20:21], 3
	v_mov_b32_e32 v1, v2
	s_add_u32 s15, s15, s8
	s_addc_u32 s20, s1, s9
	s_bitcmp1_b32 s24, 0
	v_cmp_gt_i32_e64 s0, s25, v9
	s_cselect_b32 s21, -1, 0
	s_lshl_b64 s[8:9], s[2:3], 1
	s_add_i32 s23, s23, s33
	v_lshlrev_b64 v[2:3], 3, v[0:1]
	s_lshl_b64 s[4:5], s[4:5], 3
	s_xor_b32 s2, s21, -1
	s_or_b32 s8, s8, 1
	s_lshl_b64 s[22:23], s[22:23], 3
	s_add_u32 s1, s30, s4
	s_addc_u32 s4, s31, s5
	s_add_u32 s1, s1, s22
	s_addc_u32 s4, s4, s23
	v_add_co_u32 v2, vcc_lo, s1, v2
	v_mov_b32_e32 v0, 0
	v_mov_b32_e32 v1, 0
	v_add_co_ci_u32_e32 v3, vcc_lo, s4, v3, vcc_lo
	s_lshl_b64 s[4:5], s[6:7], 7
	s_branch .LBB2_13
.LBB2_11:                               ;   in Loop: Header=BB2_13 Depth=1
	s_delay_alu instid0(VALU_DEP_2) | instskip(SKIP_3) | instid1(VALU_DEP_1)
	v_mul_lo_u32 v6, v6, v10
	v_mul_lo_u32 v13, v5, v11
	v_mad_u64_u32 v[11:12], null, v5, v10, 0
	v_ashrrev_i32_e32 v5, 31, v4
	v_lshlrev_b64 v[4:5], 3, v[4:5]
	s_delay_alu instid0(VALU_DEP_3) | instskip(NEXT) | instid1(VALU_DEP_1)
	v_add3_u32 v12, v12, v13, v6
	v_lshlrev_b64 v[10:11], 2, v[11:12]
	s_delay_alu instid0(VALU_DEP_1) | instskip(NEXT) | instid1(VALU_DEP_1)
	v_and_b32_e32 v6, -8, v10
	v_add_co_u32 v6, vcc_lo, s15, v6
	s_delay_alu instid0(VALU_DEP_3) | instskip(NEXT) | instid1(VALU_DEP_2)
	v_add_co_ci_u32_e32 v10, vcc_lo, s20, v11, vcc_lo
	v_add_co_u32 v4, vcc_lo, v6, v4
	s_delay_alu instid0(VALU_DEP_2)
	v_add_co_ci_u32_e32 v5, vcc_lo, v10, v5, vcc_lo
	global_load_b64 v[4:5], v[4:5], off
	global_load_b64 v[10:11], v[2:3], off
	s_waitcnt vmcnt(0)
	v_fma_f64 v[0:1], v[4:5], v[10:11], v[0:1]
.LBB2_12:                               ;   in Loop: Header=BB2_13 Depth=1
	s_or_b32 exec_lo, exec_lo, s6
	v_add_nc_u32_e32 v8, 16, v8
	v_add_co_u32 v2, s1, v2, s4
	s_delay_alu instid0(VALU_DEP_1) | instskip(NEXT) | instid1(VALU_DEP_3)
	v_add_co_ci_u32_e64 v3, s1, s5, v3, s1
	v_cmp_le_i32_e32 vcc_lo, s25, v8
	s_or_b32 s3, vcc_lo, s3
	s_delay_alu instid0(SALU_CYCLE_1)
	s_and_not1_b32 exec_lo, exec_lo, s3
	s_cbranch_execz .LBB2_18
.LBB2_13:                               ; =>This Inner Loop Header: Depth=1
	s_and_saveexec_b32 s6, s0
	s_cbranch_execz .LBB2_12
; %bb.14:                               ;   in Loop: Header=BB2_13 Depth=1
	v_cmp_le_i32_e32 vcc_lo, v9, v8
	v_cmp_ge_i32_e64 s1, v9, v8
	s_or_b32 s7, vcc_lo, s2
	s_delay_alu instid0(VALU_DEP_1) | instskip(NEXT) | instid1(SALU_CYCLE_1)
	s_or_b32 s1, s1, s21
	s_and_b32 vcc_lo, s7, s1
	s_mov_b32 s1, -1
	v_cndmask_b32_e32 v10, v9, v8, vcc_lo
	v_cndmask_b32_e32 v12, v8, v9, vcc_lo
	s_and_b32 vcc_lo, exec_lo, s2
	s_delay_alu instid0(VALU_DEP_2)
	v_ashrrev_i32_e32 v11, 31, v10
	s_cbranch_vccz .LBB2_16
; %bb.15:                               ;   in Loop: Header=BB2_13 Depth=1
	v_sub_co_u32 v5, vcc_lo, s8, v10
	s_delay_alu instid0(VALU_DEP_2)
	v_sub_co_ci_u32_e32 v6, vcc_lo, s9, v11, vcc_lo
	v_sub_nc_u32_e32 v4, v12, v10
	s_cbranch_execnz .LBB2_11
	s_branch .LBB2_17
.LBB2_16:                               ;   in Loop: Header=BB2_13 Depth=1
                                        ; implicit-def: $vgpr5_vgpr6
                                        ; implicit-def: $vgpr4
	s_and_not1_b32 vcc_lo, exec_lo, s1
	s_cbranch_vccnz .LBB2_11
.LBB2_17:                               ;   in Loop: Header=BB2_13 Depth=1
	v_add_co_u32 v5, vcc_lo, v10, 1
	v_add_co_ci_u32_e32 v6, vcc_lo, 0, v11, vcc_lo
	v_mov_b32_e32 v4, v12
	s_branch .LBB2_11
.LBB2_18:
	s_or_b32 exec_lo, exec_lo, s3
.LBB2_19:
	s_delay_alu instid0(SALU_CYCLE_1) | instskip(SKIP_3) | instid1(VALU_DEP_3)
	s_or_b32 exec_lo, exec_lo, s27
	v_add_nc_u32_e32 v5, s14, v7
	v_cmp_gt_u32_e32 vcc_lo, 64, v7
	v_lshlrev_b32_e32 v4, 3, v7
                                        ; implicit-def: $vgpr2_vgpr3
	v_cmp_gt_i32_e64 s0, s25, v5
	ds_store_b64 v4, v[0:1]
	s_waitcnt lgkmcnt(0)
	s_barrier
	s_and_b32 s1, vcc_lo, s0
	buffer_gl0_inv
                                        ; implicit-def: $vgpr0_vgpr1
	s_and_saveexec_b32 s0, s1
	s_cbranch_execz .LBB2_23
; %bb.20:
	ds_load_2addr_stride64_b64 v[0:3], v4 offset1:1
	ds_load_2addr_stride64_b64 v[6:9], v4 offset0:2 offset1:3
	v_cmp_eq_f64_e64 s1, s[10:11], 0
	s_waitcnt lgkmcnt(1)
	v_add_f64 v[0:1], v[0:1], v[2:3]
	s_delay_alu instid0(VALU_DEP_2) | instskip(SKIP_1) | instid1(VALU_DEP_1)
	s_and_b32 vcc_lo, exec_lo, s1
	s_waitcnt lgkmcnt(0)
	v_add_f64 v[0:1], v[6:7], v[0:1]
	s_delay_alu instid0(VALU_DEP_1) | instskip(SKIP_4) | instid1(VALU_DEP_1)
	v_add_f64 v[10:11], v[8:9], v[0:1]
	ds_load_2addr_stride64_b64 v[0:3], v4 offset0:4 offset1:5
	ds_load_2addr_stride64_b64 v[6:9], v4 offset0:6 offset1:7
	s_waitcnt lgkmcnt(1)
	v_add_f64 v[0:1], v[0:1], v[10:11]
	v_add_f64 v[0:1], v[2:3], v[0:1]
	s_waitcnt lgkmcnt(0)
	s_delay_alu instid0(VALU_DEP_1) | instskip(NEXT) | instid1(VALU_DEP_1)
	v_add_f64 v[0:1], v[6:7], v[0:1]
	v_add_f64 v[10:11], v[8:9], v[0:1]
	ds_load_2addr_stride64_b64 v[0:3], v4 offset0:8 offset1:9
	ds_load_2addr_stride64_b64 v[6:9], v4 offset0:10 offset1:11
	s_waitcnt lgkmcnt(1)
	v_add_f64 v[0:1], v[0:1], v[10:11]
	s_delay_alu instid0(VALU_DEP_1) | instskip(SKIP_1) | instid1(VALU_DEP_1)
	v_add_f64 v[0:1], v[2:3], v[0:1]
	s_waitcnt lgkmcnt(0)
	v_add_f64 v[0:1], v[6:7], v[0:1]
	s_delay_alu instid0(VALU_DEP_1) | instskip(SKIP_4) | instid1(VALU_DEP_1)
	v_add_f64 v[10:11], v[8:9], v[0:1]
	ds_load_2addr_stride64_b64 v[0:3], v4 offset0:12 offset1:13
	ds_load_2addr_stride64_b64 v[6:9], v4 offset0:14 offset1:15
	s_waitcnt lgkmcnt(1)
	v_add_f64 v[0:1], v[0:1], v[10:11]
	v_add_f64 v[0:1], v[2:3], v[0:1]
	s_waitcnt lgkmcnt(0)
	s_delay_alu instid0(VALU_DEP_1) | instskip(NEXT) | instid1(VALU_DEP_1)
	v_add_f64 v[0:1], v[6:7], v[0:1]
	v_add_f64 v[6:7], v[8:9], v[0:1]
	v_ashrrev_i32_e32 v0, 31, v5
	v_mul_lo_u32 v8, v5, s19
	s_delay_alu instid0(VALU_DEP_2) | instskip(SKIP_1) | instid1(VALU_DEP_1)
	v_mul_lo_u32 v9, v0, s18
	v_mad_u64_u32 v[0:1], null, v5, s18, 0
	v_add3_u32 v1, v1, v8, v9
	v_mul_f64 v[2:3], s[12:13], v[6:7]
	ds_store_b64 v4, v[6:7]
	s_cbranch_vccnz .LBB2_22
; %bb.21:
	v_lshlrev_b64 v[4:5], 3, v[0:1]
	s_delay_alu instid0(VALU_DEP_1) | instskip(NEXT) | instid1(VALU_DEP_2)
	v_add_co_u32 v4, vcc_lo, s16, v4
	v_add_co_ci_u32_e32 v5, vcc_lo, s17, v5, vcc_lo
	global_load_b64 v[4:5], v[4:5], off
	s_waitcnt vmcnt(0)
	v_fma_f64 v[2:3], s[10:11], v[4:5], v[2:3]
.LBB2_22:
	s_or_b32 s26, s26, exec_lo
.LBB2_23:
	s_or_b32 exec_lo, exec_lo, s0
.LBB2_24:
	s_and_saveexec_b32 s0, s26
	s_cbranch_execz .LBB2_26
; %bb.25:
	v_lshlrev_b64 v[0:1], 3, v[0:1]
	s_delay_alu instid0(VALU_DEP_1) | instskip(NEXT) | instid1(VALU_DEP_2)
	v_add_co_u32 v0, vcc_lo, s16, v0
	v_add_co_ci_u32_e32 v1, vcc_lo, s17, v1, vcc_lo
	global_store_b64 v[0:1], v[2:3], off
.LBB2_26:
	s_nop 0
	s_sendmsg sendmsg(MSG_DEALLOC_VGPRS)
	s_endpgm
	.section	.rodata,"a",@progbits
	.p2align	6, 0x0
	.amdhsa_kernel _ZL19rocblas_spmv_kernelILi64ELi16EPKdS1_PdEvbiT1_lT2_llS4_lllS3_lT3_llli
		.amdhsa_group_segment_fixed_size 8192
		.amdhsa_private_segment_fixed_size 0
		.amdhsa_kernarg_size 392
		.amdhsa_user_sgpr_count 14
		.amdhsa_user_sgpr_dispatch_ptr 0
		.amdhsa_user_sgpr_queue_ptr 0
		.amdhsa_user_sgpr_kernarg_segment_ptr 1
		.amdhsa_user_sgpr_dispatch_id 0
		.amdhsa_user_sgpr_private_segment_size 0
		.amdhsa_wavefront_size32 1
		.amdhsa_uses_dynamic_stack 0
		.amdhsa_enable_private_segment 0
		.amdhsa_system_sgpr_workgroup_id_x 1
		.amdhsa_system_sgpr_workgroup_id_y 0
		.amdhsa_system_sgpr_workgroup_id_z 1
		.amdhsa_system_sgpr_workgroup_info 0
		.amdhsa_system_vgpr_workitem_id 1
		.amdhsa_next_free_vgpr 14
		.amdhsa_next_free_sgpr 34
		.amdhsa_reserve_vcc 1
		.amdhsa_float_round_mode_32 0
		.amdhsa_float_round_mode_16_64 0
		.amdhsa_float_denorm_mode_32 3
		.amdhsa_float_denorm_mode_16_64 3
		.amdhsa_dx10_clamp 1
		.amdhsa_ieee_mode 1
		.amdhsa_fp16_overflow 0
		.amdhsa_workgroup_processor_mode 1
		.amdhsa_memory_ordered 1
		.amdhsa_forward_progress 0
		.amdhsa_shared_vgpr_count 0
		.amdhsa_exception_fp_ieee_invalid_op 0
		.amdhsa_exception_fp_denorm_src 0
		.amdhsa_exception_fp_ieee_div_zero 0
		.amdhsa_exception_fp_ieee_overflow 0
		.amdhsa_exception_fp_ieee_underflow 0
		.amdhsa_exception_fp_ieee_inexact 0
		.amdhsa_exception_int_div_zero 0
	.end_amdhsa_kernel
	.section	.text._ZL19rocblas_spmv_kernelILi64ELi16EPKdS1_PdEvbiT1_lT2_llS4_lllS3_lT3_llli,"axG",@progbits,_ZL19rocblas_spmv_kernelILi64ELi16EPKdS1_PdEvbiT1_lT2_llS4_lllS3_lT3_llli,comdat
.Lfunc_end2:
	.size	_ZL19rocblas_spmv_kernelILi64ELi16EPKdS1_PdEvbiT1_lT2_llS4_lllS3_lT3_llli, .Lfunc_end2-_ZL19rocblas_spmv_kernelILi64ELi16EPKdS1_PdEvbiT1_lT2_llS4_lllS3_lT3_llli
                                        ; -- End function
	.section	.AMDGPU.csdata,"",@progbits
; Kernel info:
; codeLenInByte = 1568
; NumSgprs: 36
; NumVgprs: 14
; ScratchSize: 0
; MemoryBound: 0
; FloatMode: 240
; IeeeMode: 1
; LDSByteSize: 8192 bytes/workgroup (compile time only)
; SGPRBlocks: 4
; VGPRBlocks: 1
; NumSGPRsForWavesPerEU: 36
; NumVGPRsForWavesPerEU: 14
; Occupancy: 16
; WaveLimiterHint : 1
; COMPUTE_PGM_RSRC2:SCRATCH_EN: 0
; COMPUTE_PGM_RSRC2:USER_SGPR: 14
; COMPUTE_PGM_RSRC2:TRAP_HANDLER: 0
; COMPUTE_PGM_RSRC2:TGID_X_EN: 1
; COMPUTE_PGM_RSRC2:TGID_Y_EN: 0
; COMPUTE_PGM_RSRC2:TGID_Z_EN: 1
; COMPUTE_PGM_RSRC2:TIDIG_COMP_CNT: 1
	.section	.text._ZL19rocblas_spmv_kernelILi64ELi16EdPKdPdEvbiT1_lT2_llS4_lllS3_lT3_llli,"axG",@progbits,_ZL19rocblas_spmv_kernelILi64ELi16EdPKdPdEvbiT1_lT2_llS4_lllS3_lT3_llli,comdat
	.globl	_ZL19rocblas_spmv_kernelILi64ELi16EdPKdPdEvbiT1_lT2_llS4_lllS3_lT3_llli ; -- Begin function _ZL19rocblas_spmv_kernelILi64ELi16EdPKdPdEvbiT1_lT2_llS4_lllS3_lT3_llli
	.p2align	8
	.type	_ZL19rocblas_spmv_kernelILi64ELi16EdPKdPdEvbiT1_lT2_llS4_lllS3_lT3_llli,@function
_ZL19rocblas_spmv_kernelILi64ELi16EdPKdPdEvbiT1_lT2_llS4_lllS3_lT3_llli: ; @_ZL19rocblas_spmv_kernelILi64ELi16EdPKdPdEvbiT1_lT2_llS4_lllS3_lT3_llli
; %bb.0:
	s_load_b64 s[2:3], s[0:1], 0x94
	s_waitcnt lgkmcnt(0)
	s_lshr_b32 s4, s2, 16
	s_and_b32 s2, s2, 0xffff
	s_and_b32 s3, s3, 0xffff
	s_mul_i32 s4, s4, s2
	s_delay_alu instid0(SALU_CYCLE_1) | instskip(NEXT) | instid1(SALU_CYCLE_1)
	s_mul_i32 s4, s4, s3
	s_cmpk_lg_i32 s4, 0x400
	s_cbranch_scc1 .LBB3_26
; %bb.1:
	s_clause 0x1
	s_load_b64 s[12:13], s[0:1], 0x8
	s_load_b256 s[4:11], s[0:1], 0x38
	s_waitcnt lgkmcnt(0)
	v_cmp_eq_f64_e64 s3, s[12:13], 0
	v_cmp_eq_f64_e64 s16, s[10:11], 1.0
	s_delay_alu instid0(VALU_DEP_1) | instskip(NEXT) | instid1(SALU_CYCLE_1)
	s_and_b32 s3, s3, s16
	s_and_b32 vcc_lo, exec_lo, s3
	s_cbranch_vccnz .LBB3_26
; %bb.2:
	v_cmp_neq_f64_e64 s26, s[12:13], 0
	s_clause 0x3
	s_load_b64 s[20:21], s[0:1], 0x78
	s_load_b64 s[22:23], s[0:1], 0x60
	s_load_b128 s[16:19], s[0:1], 0x68
	s_load_b64 s[24:25], s[0:1], 0x0
	v_and_b32_e32 v1, 0x3ff, v0
	v_bfe_u32 v0, v0, 10, 10
	s_delay_alu instid0(VALU_DEP_1)
	v_mad_u32_u24 v7, v0, s2, v1
	s_waitcnt lgkmcnt(0)
	s_mul_i32 s3, s15, s21
	s_mul_hi_u32 s21, s15, s20
	s_mul_i32 s20, s15, s20
	s_add_i32 s21, s21, s3
	s_delay_alu instid0(SALU_CYCLE_1) | instskip(NEXT) | instid1(SALU_CYCLE_1)
	s_lshl_b64 s[20:21], s[20:21], 3
	s_add_u32 s20, s22, s20
	s_addc_u32 s21, s23, s21
	s_lshl_b64 s[2:3], s[16:17], 3
	s_delay_alu instid0(SALU_CYCLE_1)
	s_add_u32 s16, s20, s2
	v_cmp_gt_u32_e64 s2, 64, v7
	s_addc_u32 s17, s21, s3
	s_and_b32 vcc_lo, exec_lo, s26
	s_mov_b32 s26, 0
	s_cbranch_vccnz .LBB3_7
; %bb.3:
	v_lshl_add_u32 v4, s14, 6, v7
	s_mov_b32 s3, 0
                                        ; implicit-def: $vgpr2_vgpr3
                                        ; implicit-def: $vgpr0_vgpr1
	s_delay_alu instid0(VALU_DEP_1) | instskip(SKIP_1) | instid1(SALU_CYCLE_1)
	v_cmp_gt_i32_e32 vcc_lo, s25, v4
	s_and_b32 s20, s2, vcc_lo
	s_and_saveexec_b32 s2, s20
	s_cbranch_execz .LBB3_8
; %bb.4:
	v_cmp_eq_f64_e64 s20, s[10:11], 0
	v_ashrrev_i32_e32 v0, 31, v4
	v_mul_lo_u32 v2, v4, s19
	s_delay_alu instid0(VALU_DEP_2) | instskip(SKIP_1) | instid1(VALU_DEP_1)
	v_mul_lo_u32 v3, v0, s18
	v_mad_u64_u32 v[0:1], null, v4, s18, 0
	v_add3_u32 v1, v1, v2, v3
	v_mov_b32_e32 v2, 0
	v_mov_b32_e32 v3, 0
	s_and_b32 vcc_lo, exec_lo, s20
	s_cbranch_vccnz .LBB3_6
; %bb.5:
	s_delay_alu instid0(VALU_DEP_4) | instskip(NEXT) | instid1(VALU_DEP_1)
	v_lshlrev_b64 v[2:3], 3, v[0:1]
	v_add_co_u32 v2, vcc_lo, s16, v2
	s_delay_alu instid0(VALU_DEP_2)
	v_add_co_ci_u32_e32 v3, vcc_lo, s17, v3, vcc_lo
	global_load_b64 v[2:3], v[2:3], off
	s_waitcnt vmcnt(0)
	v_mul_f64 v[2:3], v[2:3], s[10:11]
.LBB3_6:
	s_mov_b32 s26, exec_lo
	s_or_b32 exec_lo, exec_lo, s2
	s_delay_alu instid0(SALU_CYCLE_1)
	s_and_b32 vcc_lo, exec_lo, s3
	s_cbranch_vccnz .LBB3_9
	s_branch .LBB3_24
.LBB3_7:
                                        ; implicit-def: $vgpr2_vgpr3
                                        ; implicit-def: $vgpr0_vgpr1
	s_cbranch_execnz .LBB3_9
	s_branch .LBB3_24
.LBB3_8:
	s_or_b32 exec_lo, exec_lo, s2
	s_delay_alu instid0(SALU_CYCLE_1)
	s_and_b32 vcc_lo, exec_lo, s3
	s_cbranch_vccz .LBB3_24
.LBB3_9:
	v_mov_b32_e32 v0, 0
	v_lshrrev_b32_e32 v8, 6, v7
	v_mov_b32_e32 v1, 0
	s_lshl_b32 s14, s14, 6
	s_mov_b32 s27, exec_lo
	s_delay_alu instid0(VALU_DEP_2)
	v_cmpx_gt_i32_e64 s25, v8
	s_cbranch_execz .LBB3_19
; %bb.10:
	s_clause 0x2
	s_load_b128 s[20:23], s[0:1], 0x20
	s_load_b64 s[28:29], s[0:1], 0x18
	s_load_b64 s[30:31], s[0:1], 0x30
	v_lshrrev_b32_e32 v4, 6, v7
	s_mul_i32 s33, s9, s15
	s_mov_b32 s3, 0
	s_mov_b32 s2, s25
	v_and_or_b32 v9, v7, 63, s14
	v_mad_u64_u32 v[0:1], null, s6, v4, 0
	s_delay_alu instid0(VALU_DEP_1)
	v_mad_u64_u32 v[2:3], null, s7, v4, v[1:2]
	s_waitcnt lgkmcnt(0)
	s_mul_i32 s1, s15, s23
	s_mul_hi_u32 s9, s15, s22
	s_mul_i32 s0, s15, s22
	s_add_i32 s1, s9, s1
	s_mul_hi_u32 s23, s8, s15
	s_lshl_b64 s[0:1], s[0:1], 3
	s_mul_i32 s22, s8, s15
	s_add_u32 s15, s28, s0
	s_addc_u32 s1, s29, s1
	s_lshl_b64 s[8:9], s[20:21], 3
	v_mov_b32_e32 v1, v2
	s_add_u32 s15, s15, s8
	s_addc_u32 s20, s1, s9
	s_bitcmp1_b32 s24, 0
	v_cmp_gt_i32_e64 s0, s25, v9
	s_cselect_b32 s21, -1, 0
	s_lshl_b64 s[8:9], s[2:3], 1
	s_add_i32 s23, s23, s33
	v_lshlrev_b64 v[2:3], 3, v[0:1]
	s_lshl_b64 s[4:5], s[4:5], 3
	s_xor_b32 s2, s21, -1
	s_or_b32 s8, s8, 1
	s_lshl_b64 s[22:23], s[22:23], 3
	s_add_u32 s1, s30, s4
	s_addc_u32 s4, s31, s5
	s_add_u32 s1, s1, s22
	s_addc_u32 s4, s4, s23
	v_add_co_u32 v2, vcc_lo, s1, v2
	v_mov_b32_e32 v0, 0
	v_mov_b32_e32 v1, 0
	v_add_co_ci_u32_e32 v3, vcc_lo, s4, v3, vcc_lo
	s_lshl_b64 s[4:5], s[6:7], 7
	s_branch .LBB3_13
.LBB3_11:                               ;   in Loop: Header=BB3_13 Depth=1
	s_delay_alu instid0(VALU_DEP_2) | instskip(SKIP_3) | instid1(VALU_DEP_1)
	v_mul_lo_u32 v6, v6, v10
	v_mul_lo_u32 v13, v5, v11
	v_mad_u64_u32 v[11:12], null, v5, v10, 0
	v_ashrrev_i32_e32 v5, 31, v4
	v_lshlrev_b64 v[4:5], 3, v[4:5]
	s_delay_alu instid0(VALU_DEP_3) | instskip(NEXT) | instid1(VALU_DEP_1)
	v_add3_u32 v12, v12, v13, v6
	v_lshlrev_b64 v[10:11], 2, v[11:12]
	s_delay_alu instid0(VALU_DEP_1) | instskip(NEXT) | instid1(VALU_DEP_1)
	v_and_b32_e32 v6, -8, v10
	v_add_co_u32 v6, vcc_lo, s15, v6
	s_delay_alu instid0(VALU_DEP_3) | instskip(NEXT) | instid1(VALU_DEP_2)
	v_add_co_ci_u32_e32 v10, vcc_lo, s20, v11, vcc_lo
	v_add_co_u32 v4, vcc_lo, v6, v4
	s_delay_alu instid0(VALU_DEP_2)
	v_add_co_ci_u32_e32 v5, vcc_lo, v10, v5, vcc_lo
	global_load_b64 v[4:5], v[4:5], off
	global_load_b64 v[10:11], v[2:3], off
	s_waitcnt vmcnt(0)
	v_fma_f64 v[0:1], v[4:5], v[10:11], v[0:1]
.LBB3_12:                               ;   in Loop: Header=BB3_13 Depth=1
	s_or_b32 exec_lo, exec_lo, s6
	v_add_nc_u32_e32 v8, 16, v8
	v_add_co_u32 v2, s1, v2, s4
	s_delay_alu instid0(VALU_DEP_1) | instskip(NEXT) | instid1(VALU_DEP_3)
	v_add_co_ci_u32_e64 v3, s1, s5, v3, s1
	v_cmp_le_i32_e32 vcc_lo, s25, v8
	s_or_b32 s3, vcc_lo, s3
	s_delay_alu instid0(SALU_CYCLE_1)
	s_and_not1_b32 exec_lo, exec_lo, s3
	s_cbranch_execz .LBB3_18
.LBB3_13:                               ; =>This Inner Loop Header: Depth=1
	s_and_saveexec_b32 s6, s0
	s_cbranch_execz .LBB3_12
; %bb.14:                               ;   in Loop: Header=BB3_13 Depth=1
	v_cmp_le_i32_e32 vcc_lo, v9, v8
	v_cmp_ge_i32_e64 s1, v9, v8
	s_or_b32 s7, vcc_lo, s2
	s_delay_alu instid0(VALU_DEP_1) | instskip(NEXT) | instid1(SALU_CYCLE_1)
	s_or_b32 s1, s1, s21
	s_and_b32 vcc_lo, s7, s1
	s_mov_b32 s1, -1
	v_cndmask_b32_e32 v10, v9, v8, vcc_lo
	v_cndmask_b32_e32 v12, v8, v9, vcc_lo
	s_and_b32 vcc_lo, exec_lo, s2
	s_delay_alu instid0(VALU_DEP_2)
	v_ashrrev_i32_e32 v11, 31, v10
	s_cbranch_vccz .LBB3_16
; %bb.15:                               ;   in Loop: Header=BB3_13 Depth=1
	v_sub_co_u32 v5, vcc_lo, s8, v10
	s_delay_alu instid0(VALU_DEP_2)
	v_sub_co_ci_u32_e32 v6, vcc_lo, s9, v11, vcc_lo
	v_sub_nc_u32_e32 v4, v12, v10
	s_cbranch_execnz .LBB3_11
	s_branch .LBB3_17
.LBB3_16:                               ;   in Loop: Header=BB3_13 Depth=1
                                        ; implicit-def: $vgpr5_vgpr6
                                        ; implicit-def: $vgpr4
	s_and_not1_b32 vcc_lo, exec_lo, s1
	s_cbranch_vccnz .LBB3_11
.LBB3_17:                               ;   in Loop: Header=BB3_13 Depth=1
	v_add_co_u32 v5, vcc_lo, v10, 1
	v_add_co_ci_u32_e32 v6, vcc_lo, 0, v11, vcc_lo
	v_mov_b32_e32 v4, v12
	s_branch .LBB3_11
.LBB3_18:
	s_or_b32 exec_lo, exec_lo, s3
.LBB3_19:
	s_delay_alu instid0(SALU_CYCLE_1) | instskip(SKIP_3) | instid1(VALU_DEP_3)
	s_or_b32 exec_lo, exec_lo, s27
	v_add_nc_u32_e32 v5, s14, v7
	v_cmp_gt_u32_e32 vcc_lo, 64, v7
	v_lshlrev_b32_e32 v4, 3, v7
                                        ; implicit-def: $vgpr2_vgpr3
	v_cmp_gt_i32_e64 s0, s25, v5
	ds_store_b64 v4, v[0:1]
	s_waitcnt lgkmcnt(0)
	s_barrier
	s_and_b32 s1, vcc_lo, s0
	buffer_gl0_inv
                                        ; implicit-def: $vgpr0_vgpr1
	s_and_saveexec_b32 s0, s1
	s_cbranch_execz .LBB3_23
; %bb.20:
	ds_load_2addr_stride64_b64 v[0:3], v4 offset1:1
	ds_load_2addr_stride64_b64 v[6:9], v4 offset0:2 offset1:3
	v_cmp_eq_f64_e64 s1, s[10:11], 0
	s_waitcnt lgkmcnt(1)
	v_add_f64 v[0:1], v[0:1], v[2:3]
	s_delay_alu instid0(VALU_DEP_2) | instskip(SKIP_1) | instid1(VALU_DEP_1)
	s_and_b32 vcc_lo, exec_lo, s1
	s_waitcnt lgkmcnt(0)
	v_add_f64 v[0:1], v[6:7], v[0:1]
	s_delay_alu instid0(VALU_DEP_1) | instskip(SKIP_4) | instid1(VALU_DEP_1)
	v_add_f64 v[10:11], v[8:9], v[0:1]
	ds_load_2addr_stride64_b64 v[0:3], v4 offset0:4 offset1:5
	ds_load_2addr_stride64_b64 v[6:9], v4 offset0:6 offset1:7
	s_waitcnt lgkmcnt(1)
	v_add_f64 v[0:1], v[0:1], v[10:11]
	v_add_f64 v[0:1], v[2:3], v[0:1]
	s_waitcnt lgkmcnt(0)
	s_delay_alu instid0(VALU_DEP_1) | instskip(NEXT) | instid1(VALU_DEP_1)
	v_add_f64 v[0:1], v[6:7], v[0:1]
	v_add_f64 v[10:11], v[8:9], v[0:1]
	ds_load_2addr_stride64_b64 v[0:3], v4 offset0:8 offset1:9
	ds_load_2addr_stride64_b64 v[6:9], v4 offset0:10 offset1:11
	s_waitcnt lgkmcnt(1)
	v_add_f64 v[0:1], v[0:1], v[10:11]
	s_delay_alu instid0(VALU_DEP_1) | instskip(SKIP_1) | instid1(VALU_DEP_1)
	v_add_f64 v[0:1], v[2:3], v[0:1]
	s_waitcnt lgkmcnt(0)
	v_add_f64 v[0:1], v[6:7], v[0:1]
	s_delay_alu instid0(VALU_DEP_1) | instskip(SKIP_4) | instid1(VALU_DEP_1)
	v_add_f64 v[10:11], v[8:9], v[0:1]
	ds_load_2addr_stride64_b64 v[0:3], v4 offset0:12 offset1:13
	ds_load_2addr_stride64_b64 v[6:9], v4 offset0:14 offset1:15
	s_waitcnt lgkmcnt(1)
	v_add_f64 v[0:1], v[0:1], v[10:11]
	v_add_f64 v[0:1], v[2:3], v[0:1]
	s_waitcnt lgkmcnt(0)
	s_delay_alu instid0(VALU_DEP_1) | instskip(NEXT) | instid1(VALU_DEP_1)
	v_add_f64 v[0:1], v[6:7], v[0:1]
	v_add_f64 v[6:7], v[8:9], v[0:1]
	v_ashrrev_i32_e32 v0, 31, v5
	v_mul_lo_u32 v8, v5, s19
	s_delay_alu instid0(VALU_DEP_2) | instskip(SKIP_1) | instid1(VALU_DEP_1)
	v_mul_lo_u32 v9, v0, s18
	v_mad_u64_u32 v[0:1], null, v5, s18, 0
	v_add3_u32 v1, v1, v8, v9
	v_mul_f64 v[2:3], v[6:7], s[12:13]
	ds_store_b64 v4, v[6:7]
	s_cbranch_vccnz .LBB3_22
; %bb.21:
	v_lshlrev_b64 v[4:5], 3, v[0:1]
	s_delay_alu instid0(VALU_DEP_1) | instskip(NEXT) | instid1(VALU_DEP_2)
	v_add_co_u32 v4, vcc_lo, s16, v4
	v_add_co_ci_u32_e32 v5, vcc_lo, s17, v5, vcc_lo
	global_load_b64 v[4:5], v[4:5], off
	s_waitcnt vmcnt(0)
	v_fma_f64 v[2:3], v[4:5], s[10:11], v[2:3]
.LBB3_22:
	s_or_b32 s26, s26, exec_lo
.LBB3_23:
	s_or_b32 exec_lo, exec_lo, s0
.LBB3_24:
	s_and_saveexec_b32 s0, s26
	s_cbranch_execz .LBB3_26
; %bb.25:
	v_lshlrev_b64 v[0:1], 3, v[0:1]
	s_delay_alu instid0(VALU_DEP_1) | instskip(NEXT) | instid1(VALU_DEP_2)
	v_add_co_u32 v0, vcc_lo, s16, v0
	v_add_co_ci_u32_e32 v1, vcc_lo, s17, v1, vcc_lo
	global_store_b64 v[0:1], v[2:3], off
.LBB3_26:
	s_nop 0
	s_sendmsg sendmsg(MSG_DEALLOC_VGPRS)
	s_endpgm
	.section	.rodata,"a",@progbits
	.p2align	6, 0x0
	.amdhsa_kernel _ZL19rocblas_spmv_kernelILi64ELi16EdPKdPdEvbiT1_lT2_llS4_lllS3_lT3_llli
		.amdhsa_group_segment_fixed_size 8192
		.amdhsa_private_segment_fixed_size 0
		.amdhsa_kernarg_size 392
		.amdhsa_user_sgpr_count 14
		.amdhsa_user_sgpr_dispatch_ptr 0
		.amdhsa_user_sgpr_queue_ptr 0
		.amdhsa_user_sgpr_kernarg_segment_ptr 1
		.amdhsa_user_sgpr_dispatch_id 0
		.amdhsa_user_sgpr_private_segment_size 0
		.amdhsa_wavefront_size32 1
		.amdhsa_uses_dynamic_stack 0
		.amdhsa_enable_private_segment 0
		.amdhsa_system_sgpr_workgroup_id_x 1
		.amdhsa_system_sgpr_workgroup_id_y 0
		.amdhsa_system_sgpr_workgroup_id_z 1
		.amdhsa_system_sgpr_workgroup_info 0
		.amdhsa_system_vgpr_workitem_id 1
		.amdhsa_next_free_vgpr 14
		.amdhsa_next_free_sgpr 34
		.amdhsa_reserve_vcc 1
		.amdhsa_float_round_mode_32 0
		.amdhsa_float_round_mode_16_64 0
		.amdhsa_float_denorm_mode_32 3
		.amdhsa_float_denorm_mode_16_64 3
		.amdhsa_dx10_clamp 1
		.amdhsa_ieee_mode 1
		.amdhsa_fp16_overflow 0
		.amdhsa_workgroup_processor_mode 1
		.amdhsa_memory_ordered 1
		.amdhsa_forward_progress 0
		.amdhsa_shared_vgpr_count 0
		.amdhsa_exception_fp_ieee_invalid_op 0
		.amdhsa_exception_fp_denorm_src 0
		.amdhsa_exception_fp_ieee_div_zero 0
		.amdhsa_exception_fp_ieee_overflow 0
		.amdhsa_exception_fp_ieee_underflow 0
		.amdhsa_exception_fp_ieee_inexact 0
		.amdhsa_exception_int_div_zero 0
	.end_amdhsa_kernel
	.section	.text._ZL19rocblas_spmv_kernelILi64ELi16EdPKdPdEvbiT1_lT2_llS4_lllS3_lT3_llli,"axG",@progbits,_ZL19rocblas_spmv_kernelILi64ELi16EdPKdPdEvbiT1_lT2_llS4_lllS3_lT3_llli,comdat
.Lfunc_end3:
	.size	_ZL19rocblas_spmv_kernelILi64ELi16EdPKdPdEvbiT1_lT2_llS4_lllS3_lT3_llli, .Lfunc_end3-_ZL19rocblas_spmv_kernelILi64ELi16EdPKdPdEvbiT1_lT2_llS4_lllS3_lT3_llli
                                        ; -- End function
	.section	.AMDGPU.csdata,"",@progbits
; Kernel info:
; codeLenInByte = 1480
; NumSgprs: 36
; NumVgprs: 14
; ScratchSize: 0
; MemoryBound: 0
; FloatMode: 240
; IeeeMode: 1
; LDSByteSize: 8192 bytes/workgroup (compile time only)
; SGPRBlocks: 4
; VGPRBlocks: 1
; NumSGPRsForWavesPerEU: 36
; NumVGPRsForWavesPerEU: 14
; Occupancy: 16
; WaveLimiterHint : 1
; COMPUTE_PGM_RSRC2:SCRATCH_EN: 0
; COMPUTE_PGM_RSRC2:USER_SGPR: 14
; COMPUTE_PGM_RSRC2:TRAP_HANDLER: 0
; COMPUTE_PGM_RSRC2:TGID_X_EN: 1
; COMPUTE_PGM_RSRC2:TGID_Y_EN: 0
; COMPUTE_PGM_RSRC2:TGID_Z_EN: 1
; COMPUTE_PGM_RSRC2:TIDIG_COMP_CNT: 1
	.section	.text._ZL19rocblas_spmv_kernelILi64ELi16EPKfPKS1_PKPfEvbiT1_lT2_llS8_lllS7_lT3_llli,"axG",@progbits,_ZL19rocblas_spmv_kernelILi64ELi16EPKfPKS1_PKPfEvbiT1_lT2_llS8_lllS7_lT3_llli,comdat
	.globl	_ZL19rocblas_spmv_kernelILi64ELi16EPKfPKS1_PKPfEvbiT1_lT2_llS8_lllS7_lT3_llli ; -- Begin function _ZL19rocblas_spmv_kernelILi64ELi16EPKfPKS1_PKPfEvbiT1_lT2_llS8_lllS7_lT3_llli
	.p2align	8
	.type	_ZL19rocblas_spmv_kernelILi64ELi16EPKfPKS1_PKPfEvbiT1_lT2_llS8_lllS7_lT3_llli,@function
_ZL19rocblas_spmv_kernelILi64ELi16EPKfPKS1_PKPfEvbiT1_lT2_llS8_lllS7_lT3_llli: ; @_ZL19rocblas_spmv_kernelILi64ELi16EPKfPKS1_PKPfEvbiT1_lT2_llS8_lllS7_lT3_llli
; %bb.0:
	s_load_b64 s[2:3], s[0:1], 0x94
	s_mov_b32 s4, s15
	s_waitcnt lgkmcnt(0)
	s_lshr_b32 s5, s2, 16
	s_and_b32 s15, s2, 0xffff
	s_and_b32 s2, s3, 0xffff
	s_mul_i32 s3, s5, s15
	s_delay_alu instid0(SALU_CYCLE_1) | instskip(NEXT) | instid1(SALU_CYCLE_1)
	s_mul_i32 s3, s3, s2
	s_cmpk_lg_i32 s3, 0x400
	s_cbranch_scc1 .LBB4_30
; %bb.1:
	s_clause 0x1
	s_load_b128 s[8:11], s[0:1], 0x8
	s_load_b128 s[16:19], s[0:1], 0x50
	s_waitcnt lgkmcnt(0)
	s_mul_i32 s3, s4, s11
	s_mul_hi_u32 s5, s4, s10
	s_mul_i32 s2, s4, s10
	s_add_i32 s3, s5, s3
	s_mul_i32 s5, s4, s19
	s_lshl_b64 s[2:3], s[2:3], 2
	s_mul_hi_u32 s6, s4, s18
	s_add_u32 s2, s8, s2
	s_addc_u32 s3, s9, s3
	s_add_i32 s7, s6, s5
	s_mul_i32 s6, s4, s18
	s_mov_b32 s5, 0
	s_lshl_b64 s[6:7], s[6:7], 2
	s_delay_alu instid0(SALU_CYCLE_1)
	s_add_u32 s6, s16, s6
	s_addc_u32 s7, s17, s7
	s_load_b32 s19, s[2:3], 0x0
	s_load_b32 s18, s[6:7], 0x0
	s_waitcnt lgkmcnt(0)
	v_cmp_eq_f32_e64 s20, s19, 0
	v_cmp_eq_f32_e64 s2, s18, 1.0
	s_delay_alu instid0(VALU_DEP_1) | instskip(NEXT) | instid1(SALU_CYCLE_1)
	s_and_b32 s2, s20, s2
	s_and_b32 vcc_lo, exec_lo, s2
	s_cbranch_vccnz .LBB4_30
; %bb.2:
	s_load_b64 s[16:17], s[0:1], 0x60
	v_cmp_neq_f32_e64 s6, s19, 0
	s_mov_b64 s[12:13], 0
	s_and_b32 vcc_lo, exec_lo, s20
	s_mov_b64 s[2:3], 0
	s_cbranch_vccnz .LBB4_4
; %bb.3:
	s_load_b128 s[8:11], s[0:1], 0x18
	s_lshl_b64 s[2:3], s[4:5], 3
	s_waitcnt lgkmcnt(0)
	s_add_u32 s2, s8, s2
	s_addc_u32 s3, s9, s3
	s_lshl_b64 s[8:9], s[10:11], 2
	s_load_b64 s[2:3], s[2:3], 0x0
	s_waitcnt lgkmcnt(0)
	s_add_u32 s2, s2, s8
	s_addc_u32 s3, s3, s9
.LBB4_4:
	s_load_b128 s[8:11], s[0:1], 0x38
	s_and_not1_b32 vcc_lo, exec_lo, s6
	s_cbranch_vccnz .LBB4_6
; %bb.5:
	s_load_b64 s[6:7], s[0:1], 0x30
	s_lshl_b64 s[12:13], s[4:5], 3
	s_waitcnt lgkmcnt(0)
	s_add_u32 s6, s6, s12
	s_addc_u32 s7, s7, s13
	s_lshl_b64 s[8:9], s[8:9], 2
	s_load_b64 s[6:7], s[6:7], 0x0
	s_waitcnt lgkmcnt(0)
	s_add_u32 s12, s6, s8
	s_addc_u32 s13, s7, s9
.LBB4_6:
	s_waitcnt lgkmcnt(0)
	s_lshl_b64 s[8:9], s[4:5], 3
	s_load_b128 s[4:7], s[0:1], 0x68
	s_add_u32 s8, s16, s8
	s_addc_u32 s9, s17, s9
	v_and_b32_e32 v1, 0x3ff, v0
	s_load_b64 s[16:17], s[8:9], 0x0
	s_load_b64 s[8:9], s[0:1], 0x0
	v_bfe_u32 v0, v0, 10, 10
	s_delay_alu instid0(VALU_DEP_1) | instskip(NEXT) | instid1(VALU_DEP_1)
	v_mad_u32_u24 v5, v0, s15, v1
	v_cmp_gt_u32_e64 s0, 64, v5
	s_waitcnt lgkmcnt(0)
	s_lshl_b64 s[4:5], s[4:5], 2
	s_delay_alu instid0(SALU_CYCLE_1)
	s_add_u32 s16, s16, s4
	s_addc_u32 s17, s17, s5
	s_and_not1_b32 vcc_lo, exec_lo, s20
	s_cbranch_vccnz .LBB4_11
; %bb.7:
	v_lshl_add_u32 v3, s14, 6, v5
	s_mov_b32 s1, 0
	s_mov_b32 s20, 0
                                        ; implicit-def: $vgpr2
                                        ; implicit-def: $vgpr0_vgpr1
	s_delay_alu instid0(VALU_DEP_1) | instskip(SKIP_1) | instid1(SALU_CYCLE_1)
	v_cmp_gt_i32_e32 vcc_lo, s9, v3
	s_and_b32 s4, s0, vcc_lo
	s_and_saveexec_b32 s0, s4
	s_cbranch_execz .LBB4_12
; %bb.8:
	v_ashrrev_i32_e32 v2, 31, v3
	v_mul_lo_u32 v4, v3, s7
	v_mad_u64_u32 v[0:1], null, v3, s6, 0
	v_cmp_eq_f32_e64 s4, s18, 0
	s_delay_alu instid0(VALU_DEP_4) | instskip(NEXT) | instid1(VALU_DEP_2)
	v_mul_lo_u32 v2, v2, s6
	s_and_b32 vcc_lo, exec_lo, s4
	s_delay_alu instid0(VALU_DEP_1)
	v_add3_u32 v1, v1, v4, v2
	v_mov_b32_e32 v2, 0
	s_cbranch_vccnz .LBB4_10
; %bb.9:
	s_delay_alu instid0(VALU_DEP_2) | instskip(NEXT) | instid1(VALU_DEP_1)
	v_lshlrev_b64 v[2:3], 2, v[0:1]
	v_add_co_u32 v2, vcc_lo, s16, v2
	s_delay_alu instid0(VALU_DEP_2)
	v_add_co_ci_u32_e32 v3, vcc_lo, s17, v3, vcc_lo
	global_load_b32 v2, v[2:3], off
	s_waitcnt vmcnt(0)
	v_mul_f32_e32 v2, s18, v2
.LBB4_10:
	s_mov_b32 s20, exec_lo
	s_or_b32 exec_lo, exec_lo, s0
	s_delay_alu instid0(SALU_CYCLE_1)
	s_and_b32 vcc_lo, exec_lo, s1
	s_cbranch_vccnz .LBB4_13
	s_branch .LBB4_28
.LBB4_11:
	s_mov_b32 s20, 0
                                        ; implicit-def: $vgpr2
                                        ; implicit-def: $vgpr0_vgpr1
	s_cbranch_execnz .LBB4_13
	s_branch .LBB4_28
.LBB4_12:
	s_or_b32 exec_lo, exec_lo, s0
	s_delay_alu instid0(SALU_CYCLE_1)
	s_and_b32 vcc_lo, exec_lo, s1
	s_cbranch_vccz .LBB4_28
.LBB4_13:
	v_lshrrev_b32_e32 v6, 6, v5
	v_mov_b32_e32 v7, 0
	s_lshl_b32 s21, s14, 6
	s_mov_b32 s22, exec_lo
	s_delay_alu instid0(VALU_DEP_2)
	v_cmpx_gt_i32_e64 s9, v6
	s_cbranch_execz .LBB4_23
; %bb.14:
	v_lshrrev_b32_e32 v4, 6, v5
	v_and_or_b32 v8, v5, 63, s21
	s_bitcmp1_b32 s8, 0
	s_mov_b32 s5, 0
	s_mov_b32 s4, s9
	v_mad_u64_u32 v[0:1], null, s10, v4, 0
	v_cmp_gt_i32_e64 s0, s9, v8
	v_mov_b32_e32 v7, 0
	s_cselect_b32 s8, -1, 0
	s_lshl_b64 s[14:15], s[4:5], 1
	s_xor_b32 s4, s8, -1
	s_or_b32 s14, s14, 1
	s_delay_alu instid0(VALU_DEP_3) | instskip(SKIP_1) | instid1(VALU_DEP_1)
	v_mad_u64_u32 v[2:3], null, s11, v4, v[1:2]
	s_lshl_b64 s[10:11], s[10:11], 6
	v_mov_b32_e32 v1, v2
	s_delay_alu instid0(VALU_DEP_1) | instskip(NEXT) | instid1(VALU_DEP_1)
	v_lshlrev_b64 v[0:1], 2, v[0:1]
	v_add_co_u32 v0, vcc_lo, s12, v0
	s_delay_alu instid0(VALU_DEP_2)
	v_add_co_ci_u32_e32 v1, vcc_lo, s13, v1, vcc_lo
	s_branch .LBB4_17
.LBB4_15:                               ;   in Loop: Header=BB4_17 Depth=1
	s_delay_alu instid0(VALU_DEP_2) | instskip(SKIP_3) | instid1(VALU_DEP_1)
	v_mul_lo_u32 v4, v4, v9
	v_mul_lo_u32 v12, v3, v10
	v_mad_u64_u32 v[10:11], null, v3, v9, 0
	v_ashrrev_i32_e32 v3, 31, v2
	v_lshlrev_b64 v[2:3], 2, v[2:3]
	s_delay_alu instid0(VALU_DEP_3) | instskip(NEXT) | instid1(VALU_DEP_1)
	v_add3_u32 v11, v11, v12, v4
	v_lshlrev_b64 v[9:10], 1, v[10:11]
	s_delay_alu instid0(VALU_DEP_1) | instskip(NEXT) | instid1(VALU_DEP_1)
	v_and_b32_e32 v4, -4, v9
	v_add_co_u32 v4, vcc_lo, s2, v4
	s_delay_alu instid0(VALU_DEP_3) | instskip(NEXT) | instid1(VALU_DEP_2)
	v_add_co_ci_u32_e32 v9, vcc_lo, s3, v10, vcc_lo
	v_add_co_u32 v2, vcc_lo, v4, v2
	s_delay_alu instid0(VALU_DEP_2)
	v_add_co_ci_u32_e32 v3, vcc_lo, v9, v3, vcc_lo
	flat_load_b32 v2, v[2:3]
	flat_load_b32 v3, v[0:1]
	s_waitcnt vmcnt(0) lgkmcnt(0)
	v_fmac_f32_e32 v7, v2, v3
.LBB4_16:                               ;   in Loop: Header=BB4_17 Depth=1
	s_or_b32 exec_lo, exec_lo, s12
	v_add_nc_u32_e32 v6, 16, v6
	v_add_co_u32 v0, s1, v0, s10
	s_delay_alu instid0(VALU_DEP_1) | instskip(NEXT) | instid1(VALU_DEP_3)
	v_add_co_ci_u32_e64 v1, s1, s11, v1, s1
	v_cmp_le_i32_e32 vcc_lo, s9, v6
	s_or_b32 s5, vcc_lo, s5
	s_delay_alu instid0(SALU_CYCLE_1)
	s_and_not1_b32 exec_lo, exec_lo, s5
	s_cbranch_execz .LBB4_22
.LBB4_17:                               ; =>This Inner Loop Header: Depth=1
	s_and_saveexec_b32 s12, s0
	s_cbranch_execz .LBB4_16
; %bb.18:                               ;   in Loop: Header=BB4_17 Depth=1
	v_cmp_le_i32_e32 vcc_lo, v8, v6
	v_cmp_ge_i32_e64 s1, v8, v6
	s_or_b32 s13, vcc_lo, s4
	s_delay_alu instid0(VALU_DEP_1) | instskip(NEXT) | instid1(SALU_CYCLE_1)
	s_or_b32 s1, s1, s8
	s_and_b32 vcc_lo, s13, s1
	s_mov_b32 s1, -1
	v_cndmask_b32_e32 v9, v8, v6, vcc_lo
	v_cndmask_b32_e32 v11, v6, v8, vcc_lo
	s_and_b32 vcc_lo, exec_lo, s4
	s_delay_alu instid0(VALU_DEP_2)
	v_ashrrev_i32_e32 v10, 31, v9
	s_cbranch_vccz .LBB4_20
; %bb.19:                               ;   in Loop: Header=BB4_17 Depth=1
	v_sub_co_u32 v3, vcc_lo, s14, v9
	s_delay_alu instid0(VALU_DEP_2)
	v_sub_co_ci_u32_e32 v4, vcc_lo, s15, v10, vcc_lo
	v_sub_nc_u32_e32 v2, v11, v9
	s_cbranch_execnz .LBB4_15
	s_branch .LBB4_21
.LBB4_20:                               ;   in Loop: Header=BB4_17 Depth=1
                                        ; implicit-def: $vgpr3_vgpr4
                                        ; implicit-def: $vgpr2
	s_and_not1_b32 vcc_lo, exec_lo, s1
	s_cbranch_vccnz .LBB4_15
.LBB4_21:                               ;   in Loop: Header=BB4_17 Depth=1
	v_add_co_u32 v3, vcc_lo, v9, 1
	v_add_co_ci_u32_e32 v4, vcc_lo, 0, v10, vcc_lo
	v_mov_b32_e32 v2, v11
	s_branch .LBB4_15
.LBB4_22:
	s_or_b32 exec_lo, exec_lo, s5
.LBB4_23:
	s_delay_alu instid0(SALU_CYCLE_1) | instskip(SKIP_3) | instid1(VALU_DEP_3)
	s_or_b32 exec_lo, exec_lo, s22
	v_add_nc_u32_e32 v4, s21, v5
	v_cmp_gt_u32_e32 vcc_lo, 64, v5
	v_lshlrev_b32_e32 v3, 2, v5
                                        ; implicit-def: $vgpr2
                                        ; implicit-def: $vgpr0_vgpr1
	v_cmp_gt_i32_e64 s0, s9, v4
	ds_store_b32 v3, v7
	s_waitcnt lgkmcnt(0)
	s_barrier
	s_and_b32 s1, vcc_lo, s0
	buffer_gl0_inv
	s_and_saveexec_b32 s0, s1
	s_cbranch_execz .LBB4_27
; %bb.24:
	ds_load_2addr_stride64_b32 v[0:1], v3 offset1:1
	ds_load_2addr_stride64_b32 v[5:6], v3 offset0:2 offset1:3
	ds_load_2addr_stride64_b32 v[7:8], v3 offset0:4 offset1:5
	;; [unrolled: 1-line block ×3, first 2 shown]
	v_cmp_eq_f32_e64 s1, s18, 0
	s_delay_alu instid0(VALU_DEP_1) | instskip(SKIP_3) | instid1(VALU_DEP_1)
	s_and_b32 vcc_lo, exec_lo, s1
	s_waitcnt lgkmcnt(3)
	v_add_f32_e32 v0, v0, v1
	s_waitcnt lgkmcnt(2)
	v_add_f32_e32 v0, v5, v0
	s_delay_alu instid0(VALU_DEP_1)
	v_add_f32_e32 v0, v6, v0
	ds_load_2addr_stride64_b32 v[5:6], v3 offset0:10 offset1:11
	s_waitcnt lgkmcnt(2)
	v_add_f32_e32 v2, v7, v0
	ds_load_2addr_stride64_b32 v[0:1], v3 offset0:8 offset1:9
	v_add_f32_e32 v2, v8, v2
	s_waitcnt lgkmcnt(2)
	s_delay_alu instid0(VALU_DEP_1) | instskip(NEXT) | instid1(VALU_DEP_1)
	v_add_f32_e32 v2, v9, v2
	v_add_f32_e32 v2, v10, v2
	ds_load_2addr_stride64_b32 v[7:8], v3 offset0:12 offset1:13
	ds_load_2addr_stride64_b32 v[9:10], v3 offset0:14 offset1:15
	s_waitcnt lgkmcnt(2)
	v_add_f32_e32 v0, v0, v2
	s_delay_alu instid0(VALU_DEP_1) | instskip(NEXT) | instid1(VALU_DEP_1)
	v_add_f32_e32 v0, v1, v0
	v_add_f32_e32 v0, v5, v0
	v_ashrrev_i32_e32 v5, 31, v4
	s_delay_alu instid0(VALU_DEP_2) | instskip(SKIP_2) | instid1(VALU_DEP_2)
	v_add_f32_e32 v0, v6, v0
	v_mul_lo_u32 v6, v4, s7
	s_waitcnt lgkmcnt(1)
	v_add_f32_e32 v0, v7, v0
	s_delay_alu instid0(VALU_DEP_1) | instskip(SKIP_3) | instid1(VALU_DEP_3)
	v_add_f32_e32 v2, v8, v0
	v_mad_u64_u32 v[0:1], null, v4, s6, 0
	v_mul_lo_u32 v4, v5, s6
	s_waitcnt lgkmcnt(0)
	v_add_f32_e32 v2, v9, v2
	s_delay_alu instid0(VALU_DEP_1) | instskip(NEXT) | instid1(VALU_DEP_3)
	v_add_f32_e32 v5, v10, v2
	v_add3_u32 v1, v1, v6, v4
	s_delay_alu instid0(VALU_DEP_2)
	v_mul_f32_e32 v2, s19, v5
	ds_store_b32 v3, v5
	s_cbranch_vccnz .LBB4_26
; %bb.25:
	v_lshlrev_b64 v[3:4], 2, v[0:1]
	s_delay_alu instid0(VALU_DEP_1) | instskip(NEXT) | instid1(VALU_DEP_2)
	v_add_co_u32 v3, vcc_lo, s16, v3
	v_add_co_ci_u32_e32 v4, vcc_lo, s17, v4, vcc_lo
	global_load_b32 v3, v[3:4], off
	s_waitcnt vmcnt(0)
	v_fmac_f32_e32 v2, s18, v3
.LBB4_26:
	s_or_b32 s20, s20, exec_lo
.LBB4_27:
	s_or_b32 exec_lo, exec_lo, s0
.LBB4_28:
	s_and_saveexec_b32 s0, s20
	s_cbranch_execz .LBB4_30
; %bb.29:
	v_lshlrev_b64 v[0:1], 2, v[0:1]
	s_delay_alu instid0(VALU_DEP_1) | instskip(NEXT) | instid1(VALU_DEP_2)
	v_add_co_u32 v0, vcc_lo, s16, v0
	v_add_co_ci_u32_e32 v1, vcc_lo, s17, v1, vcc_lo
	global_store_b32 v[0:1], v2, off
.LBB4_30:
	s_nop 0
	s_sendmsg sendmsg(MSG_DEALLOC_VGPRS)
	s_endpgm
	.section	.rodata,"a",@progbits
	.p2align	6, 0x0
	.amdhsa_kernel _ZL19rocblas_spmv_kernelILi64ELi16EPKfPKS1_PKPfEvbiT1_lT2_llS8_lllS7_lT3_llli
		.amdhsa_group_segment_fixed_size 4096
		.amdhsa_private_segment_fixed_size 0
		.amdhsa_kernarg_size 392
		.amdhsa_user_sgpr_count 14
		.amdhsa_user_sgpr_dispatch_ptr 0
		.amdhsa_user_sgpr_queue_ptr 0
		.amdhsa_user_sgpr_kernarg_segment_ptr 1
		.amdhsa_user_sgpr_dispatch_id 0
		.amdhsa_user_sgpr_private_segment_size 0
		.amdhsa_wavefront_size32 1
		.amdhsa_uses_dynamic_stack 0
		.amdhsa_enable_private_segment 0
		.amdhsa_system_sgpr_workgroup_id_x 1
		.amdhsa_system_sgpr_workgroup_id_y 0
		.amdhsa_system_sgpr_workgroup_id_z 1
		.amdhsa_system_sgpr_workgroup_info 0
		.amdhsa_system_vgpr_workitem_id 1
		.amdhsa_next_free_vgpr 13
		.amdhsa_next_free_sgpr 23
		.amdhsa_reserve_vcc 1
		.amdhsa_float_round_mode_32 0
		.amdhsa_float_round_mode_16_64 0
		.amdhsa_float_denorm_mode_32 3
		.amdhsa_float_denorm_mode_16_64 3
		.amdhsa_dx10_clamp 1
		.amdhsa_ieee_mode 1
		.amdhsa_fp16_overflow 0
		.amdhsa_workgroup_processor_mode 1
		.amdhsa_memory_ordered 1
		.amdhsa_forward_progress 0
		.amdhsa_shared_vgpr_count 0
		.amdhsa_exception_fp_ieee_invalid_op 0
		.amdhsa_exception_fp_denorm_src 0
		.amdhsa_exception_fp_ieee_div_zero 0
		.amdhsa_exception_fp_ieee_overflow 0
		.amdhsa_exception_fp_ieee_underflow 0
		.amdhsa_exception_fp_ieee_inexact 0
		.amdhsa_exception_int_div_zero 0
	.end_amdhsa_kernel
	.section	.text._ZL19rocblas_spmv_kernelILi64ELi16EPKfPKS1_PKPfEvbiT1_lT2_llS8_lllS7_lT3_llli,"axG",@progbits,_ZL19rocblas_spmv_kernelILi64ELi16EPKfPKS1_PKPfEvbiT1_lT2_llS8_lllS7_lT3_llli,comdat
.Lfunc_end4:
	.size	_ZL19rocblas_spmv_kernelILi64ELi16EPKfPKS1_PKPfEvbiT1_lT2_llS8_lllS7_lT3_llli, .Lfunc_end4-_ZL19rocblas_spmv_kernelILi64ELi16EPKfPKS1_PKPfEvbiT1_lT2_llS8_lllS7_lT3_llli
                                        ; -- End function
	.section	.AMDGPU.csdata,"",@progbits
; Kernel info:
; codeLenInByte = 1492
; NumSgprs: 25
; NumVgprs: 13
; ScratchSize: 0
; MemoryBound: 0
; FloatMode: 240
; IeeeMode: 1
; LDSByteSize: 4096 bytes/workgroup (compile time only)
; SGPRBlocks: 3
; VGPRBlocks: 1
; NumSGPRsForWavesPerEU: 25
; NumVGPRsForWavesPerEU: 13
; Occupancy: 16
; WaveLimiterHint : 1
; COMPUTE_PGM_RSRC2:SCRATCH_EN: 0
; COMPUTE_PGM_RSRC2:USER_SGPR: 14
; COMPUTE_PGM_RSRC2:TRAP_HANDLER: 0
; COMPUTE_PGM_RSRC2:TGID_X_EN: 1
; COMPUTE_PGM_RSRC2:TGID_Y_EN: 0
; COMPUTE_PGM_RSRC2:TGID_Z_EN: 1
; COMPUTE_PGM_RSRC2:TIDIG_COMP_CNT: 1
	.section	.text._ZL19rocblas_spmv_kernelILi64ELi16EfPKPKfPKPfEvbiT1_lT2_llS8_lllS7_lT3_llli,"axG",@progbits,_ZL19rocblas_spmv_kernelILi64ELi16EfPKPKfPKPfEvbiT1_lT2_llS8_lllS7_lT3_llli,comdat
	.globl	_ZL19rocblas_spmv_kernelILi64ELi16EfPKPKfPKPfEvbiT1_lT2_llS8_lllS7_lT3_llli ; -- Begin function _ZL19rocblas_spmv_kernelILi64ELi16EfPKPKfPKPfEvbiT1_lT2_llS8_lllS7_lT3_llli
	.p2align	8
	.type	_ZL19rocblas_spmv_kernelILi64ELi16EfPKPKfPKPfEvbiT1_lT2_llS8_lllS7_lT3_llli,@function
_ZL19rocblas_spmv_kernelILi64ELi16EfPKPKfPKPfEvbiT1_lT2_llS8_lllS7_lT3_llli: ; @_ZL19rocblas_spmv_kernelILi64ELi16EfPKPKfPKPfEvbiT1_lT2_llS8_lllS7_lT3_llli
; %bb.0:
	s_load_b64 s[4:5], s[0:1], 0x94
	s_mov_b32 s2, s15
	s_waitcnt lgkmcnt(0)
	s_lshr_b32 s3, s4, 16
	s_and_b32 s15, s4, 0xffff
	s_and_b32 s4, s5, 0xffff
	s_mul_i32 s3, s3, s15
	s_delay_alu instid0(SALU_CYCLE_1) | instskip(NEXT) | instid1(SALU_CYCLE_1)
	s_mul_i32 s3, s3, s4
	s_cmpk_lg_i32 s3, 0x400
	s_cbranch_scc1 .LBB5_33
; %bb.1:
	s_load_b128 s[4:7], s[0:1], 0x0
	s_waitcnt lgkmcnt(0)
	s_load_b32 s7, s[0:1], 0x50
	v_cmp_eq_f32_e64 s20, s6, 0
	s_waitcnt lgkmcnt(0)
	v_cmp_eq_f32_e64 s3, s7, 1.0
	s_delay_alu instid0(VALU_DEP_1) | instskip(NEXT) | instid1(SALU_CYCLE_1)
	s_and_b32 s3, s20, s3
	s_and_b32 vcc_lo, exec_lo, s3
	s_cbranch_vccnz .LBB5_33
; %bb.2:
	v_cmp_neq_f32_e64 s18, s6, 0
	s_delay_alu instid0(VALU_DEP_1)
	s_and_b32 vcc_lo, exec_lo, s18
	s_cbranch_vccnz .LBB5_4
; %bb.3:
	s_mov_b32 s3, 0
	s_mov_b64 s[12:13], 0
	s_load_b64 s[16:17], s[0:1], 0x60
	s_cbranch_execz .LBB5_5
	s_branch .LBB5_6
.LBB5_4:
	s_mov_b32 s3, -1
                                        ; implicit-def: $sgpr12_sgpr13
	s_load_b64 s[16:17], s[0:1], 0x60
.LBB5_5:
	s_load_b128 s[8:11], s[0:1], 0x18
	s_mov_b32 s3, 0
	s_delay_alu instid0(SALU_CYCLE_1)
	s_lshl_b64 s[12:13], s[2:3], 3
	s_waitcnt lgkmcnt(0)
	s_add_u32 s8, s8, s12
	s_addc_u32 s9, s9, s13
	s_lshl_b64 s[10:11], s[10:11], 2
	s_load_b64 s[8:9], s[8:9], 0x0
	s_waitcnt lgkmcnt(0)
	s_add_u32 s12, s8, s10
	s_addc_u32 s13, s9, s11
.LBB5_6:
	s_load_b128 s[8:11], s[0:1], 0x38
	s_and_not1_b32 vcc_lo, exec_lo, s18
	s_cbranch_vccnz .LBB5_8
; %bb.7:
	s_load_b64 s[18:19], s[0:1], 0x30
	s_lshl_b64 s[22:23], s[2:3], 3
	s_waitcnt lgkmcnt(0)
	s_add_u32 s18, s18, s22
	s_addc_u32 s19, s19, s23
	s_lshl_b64 s[8:9], s[8:9], 2
	s_load_b64 s[18:19], s[18:19], 0x0
	s_waitcnt lgkmcnt(0)
	s_add_u32 s8, s18, s8
	s_addc_u32 s9, s19, s9
	s_branch .LBB5_9
.LBB5_8:
	s_waitcnt lgkmcnt(0)
	s_mov_b64 s[8:9], 0
.LBB5_9:
	s_lshl_b64 s[18:19], s[2:3], 3
	s_load_b128 s[0:3], s[0:1], 0x68
	s_add_u32 s16, s16, s18
	s_addc_u32 s17, s17, s19
	v_and_b32_e32 v1, 0x3ff, v0
	s_load_b64 s[16:17], s[16:17], 0x0
	v_bfe_u32 v0, v0, 10, 10
	s_delay_alu instid0(VALU_DEP_1) | instskip(SKIP_2) | instid1(VALU_DEP_1)
	v_mad_u32_u24 v5, v0, s15, v1
	s_waitcnt lgkmcnt(0)
	s_lshl_b64 s[18:19], s[0:1], 2
	v_cmp_gt_u32_e64 s0, 64, v5
	s_add_u32 s18, s16, s18
	s_addc_u32 s19, s17, s19
	s_and_not1_b32 vcc_lo, exec_lo, s20
	s_cbranch_vccnz .LBB5_14
; %bb.10:
	v_lshl_add_u32 v3, s14, 6, v5
	s_mov_b32 s1, 0
	s_mov_b32 s20, 0
                                        ; implicit-def: $vgpr2
                                        ; implicit-def: $vgpr0_vgpr1
	s_delay_alu instid0(VALU_DEP_1) | instskip(SKIP_1) | instid1(SALU_CYCLE_1)
	v_cmp_gt_i32_e32 vcc_lo, s5, v3
	s_and_b32 s15, s0, vcc_lo
	s_and_saveexec_b32 s0, s15
	s_cbranch_execz .LBB5_15
; %bb.11:
	v_ashrrev_i32_e32 v2, 31, v3
	v_mul_lo_u32 v4, v3, s3
	v_mad_u64_u32 v[0:1], null, v3, s2, 0
	v_cmp_eq_f32_e64 s15, s7, 0
	s_delay_alu instid0(VALU_DEP_4) | instskip(NEXT) | instid1(VALU_DEP_2)
	v_mul_lo_u32 v2, v2, s2
	s_and_b32 vcc_lo, exec_lo, s15
	s_delay_alu instid0(VALU_DEP_1)
	v_add3_u32 v1, v1, v4, v2
	v_mov_b32_e32 v2, 0
	s_cbranch_vccnz .LBB5_13
; %bb.12:
	s_delay_alu instid0(VALU_DEP_2) | instskip(NEXT) | instid1(VALU_DEP_1)
	v_lshlrev_b64 v[2:3], 2, v[0:1]
	v_add_co_u32 v2, vcc_lo, s18, v2
	s_delay_alu instid0(VALU_DEP_2)
	v_add_co_ci_u32_e32 v3, vcc_lo, s19, v3, vcc_lo
	global_load_b32 v2, v[2:3], off
	s_waitcnt vmcnt(0)
	v_mul_f32_e32 v2, s7, v2
.LBB5_13:
	s_mov_b32 s20, exec_lo
	s_or_b32 exec_lo, exec_lo, s0
	s_delay_alu instid0(SALU_CYCLE_1)
	s_and_b32 vcc_lo, exec_lo, s1
	s_cbranch_vccnz .LBB5_16
	s_branch .LBB5_31
.LBB5_14:
	s_mov_b32 s20, 0
                                        ; implicit-def: $vgpr2
                                        ; implicit-def: $vgpr0_vgpr1
	s_cbranch_execnz .LBB5_16
	s_branch .LBB5_31
.LBB5_15:
	s_or_b32 exec_lo, exec_lo, s0
	s_delay_alu instid0(SALU_CYCLE_1)
	s_and_b32 vcc_lo, exec_lo, s1
	s_cbranch_vccz .LBB5_31
.LBB5_16:
	v_lshrrev_b32_e32 v6, 6, v5
	v_mov_b32_e32 v7, 0
	s_lshl_b32 s21, s14, 6
	s_mov_b32 s22, exec_lo
	s_delay_alu instid0(VALU_DEP_2)
	v_cmpx_gt_i32_e64 s5, v6
	s_cbranch_execz .LBB5_26
; %bb.17:
	v_lshrrev_b32_e32 v4, 6, v5
	v_and_or_b32 v8, v5, 63, s21
	s_bitcmp1_b32 s4, 0
	s_mov_b32 s15, 0
	s_mov_b32 s14, s5
	v_mad_u64_u32 v[0:1], null, s10, v4, 0
	v_cmp_gt_i32_e64 s0, s5, v8
	v_mov_b32_e32 v7, 0
	s_cselect_b32 s4, -1, 0
	s_lshl_b64 s[16:17], s[14:15], 1
	s_xor_b32 s14, s4, -1
	s_or_b32 s16, s16, 1
	s_delay_alu instid0(VALU_DEP_3) | instskip(NEXT) | instid1(VALU_DEP_1)
	v_mad_u64_u32 v[2:3], null, s11, v4, v[1:2]
	v_mov_b32_e32 v1, v2
	s_delay_alu instid0(VALU_DEP_1) | instskip(NEXT) | instid1(VALU_DEP_1)
	v_lshlrev_b64 v[0:1], 2, v[0:1]
	v_add_co_u32 v0, vcc_lo, s8, v0
	s_delay_alu instid0(VALU_DEP_2)
	v_add_co_ci_u32_e32 v1, vcc_lo, s9, v1, vcc_lo
	s_lshl_b64 s[8:9], s[10:11], 6
	s_branch .LBB5_20
.LBB5_18:                               ;   in Loop: Header=BB5_20 Depth=1
	s_delay_alu instid0(VALU_DEP_2) | instskip(SKIP_3) | instid1(VALU_DEP_1)
	v_mul_lo_u32 v4, v4, v9
	v_mul_lo_u32 v12, v3, v10
	v_mad_u64_u32 v[10:11], null, v3, v9, 0
	v_ashrrev_i32_e32 v3, 31, v2
	v_lshlrev_b64 v[2:3], 2, v[2:3]
	s_delay_alu instid0(VALU_DEP_3) | instskip(NEXT) | instid1(VALU_DEP_1)
	v_add3_u32 v11, v11, v12, v4
	v_lshlrev_b64 v[9:10], 1, v[10:11]
	s_delay_alu instid0(VALU_DEP_1) | instskip(NEXT) | instid1(VALU_DEP_1)
	v_and_b32_e32 v4, -4, v9
	v_add_co_u32 v4, vcc_lo, s12, v4
	s_delay_alu instid0(VALU_DEP_3) | instskip(NEXT) | instid1(VALU_DEP_2)
	v_add_co_ci_u32_e32 v9, vcc_lo, s13, v10, vcc_lo
	v_add_co_u32 v2, vcc_lo, v4, v2
	s_delay_alu instid0(VALU_DEP_2)
	v_add_co_ci_u32_e32 v3, vcc_lo, v9, v3, vcc_lo
	flat_load_b32 v2, v[2:3]
	flat_load_b32 v3, v[0:1]
	s_waitcnt vmcnt(0) lgkmcnt(0)
	v_fmac_f32_e32 v7, v2, v3
.LBB5_19:                               ;   in Loop: Header=BB5_20 Depth=1
	s_or_b32 exec_lo, exec_lo, s10
	v_add_nc_u32_e32 v6, 16, v6
	v_add_co_u32 v0, s1, v0, s8
	s_delay_alu instid0(VALU_DEP_1) | instskip(NEXT) | instid1(VALU_DEP_3)
	v_add_co_ci_u32_e64 v1, s1, s9, v1, s1
	v_cmp_le_i32_e32 vcc_lo, s5, v6
	s_or_b32 s15, vcc_lo, s15
	s_delay_alu instid0(SALU_CYCLE_1)
	s_and_not1_b32 exec_lo, exec_lo, s15
	s_cbranch_execz .LBB5_25
.LBB5_20:                               ; =>This Inner Loop Header: Depth=1
	s_and_saveexec_b32 s10, s0
	s_cbranch_execz .LBB5_19
; %bb.21:                               ;   in Loop: Header=BB5_20 Depth=1
	v_cmp_le_i32_e32 vcc_lo, v8, v6
	v_cmp_ge_i32_e64 s1, v8, v6
	s_or_b32 s11, vcc_lo, s14
	s_delay_alu instid0(VALU_DEP_1) | instskip(NEXT) | instid1(SALU_CYCLE_1)
	s_or_b32 s1, s1, s4
	s_and_b32 vcc_lo, s11, s1
	s_mov_b32 s1, -1
	v_cndmask_b32_e32 v9, v8, v6, vcc_lo
	v_cndmask_b32_e32 v11, v6, v8, vcc_lo
	s_and_b32 vcc_lo, exec_lo, s14
	s_delay_alu instid0(VALU_DEP_2)
	v_ashrrev_i32_e32 v10, 31, v9
	s_cbranch_vccz .LBB5_23
; %bb.22:                               ;   in Loop: Header=BB5_20 Depth=1
	v_sub_co_u32 v3, vcc_lo, s16, v9
	s_delay_alu instid0(VALU_DEP_2)
	v_sub_co_ci_u32_e32 v4, vcc_lo, s17, v10, vcc_lo
	v_sub_nc_u32_e32 v2, v11, v9
	s_cbranch_execnz .LBB5_18
	s_branch .LBB5_24
.LBB5_23:                               ;   in Loop: Header=BB5_20 Depth=1
                                        ; implicit-def: $vgpr3_vgpr4
                                        ; implicit-def: $vgpr2
	s_and_not1_b32 vcc_lo, exec_lo, s1
	s_cbranch_vccnz .LBB5_18
.LBB5_24:                               ;   in Loop: Header=BB5_20 Depth=1
	v_add_co_u32 v3, vcc_lo, v9, 1
	v_add_co_ci_u32_e32 v4, vcc_lo, 0, v10, vcc_lo
	v_mov_b32_e32 v2, v11
	s_branch .LBB5_18
.LBB5_25:
	s_or_b32 exec_lo, exec_lo, s15
.LBB5_26:
	s_delay_alu instid0(SALU_CYCLE_1) | instskip(SKIP_3) | instid1(VALU_DEP_3)
	s_or_b32 exec_lo, exec_lo, s22
	v_add_nc_u32_e32 v4, s21, v5
	v_cmp_gt_u32_e32 vcc_lo, 64, v5
	v_lshlrev_b32_e32 v3, 2, v5
                                        ; implicit-def: $vgpr2
                                        ; implicit-def: $vgpr0_vgpr1
	v_cmp_gt_i32_e64 s0, s5, v4
	ds_store_b32 v3, v7
	s_waitcnt lgkmcnt(0)
	s_barrier
	s_and_b32 s1, vcc_lo, s0
	buffer_gl0_inv
	s_and_saveexec_b32 s0, s1
	s_cbranch_execz .LBB5_30
; %bb.27:
	ds_load_2addr_stride64_b32 v[0:1], v3 offset1:1
	ds_load_2addr_stride64_b32 v[5:6], v3 offset0:2 offset1:3
	ds_load_2addr_stride64_b32 v[7:8], v3 offset0:4 offset1:5
	;; [unrolled: 1-line block ×3, first 2 shown]
	v_cmp_eq_f32_e64 s1, s7, 0
	s_delay_alu instid0(VALU_DEP_1) | instskip(SKIP_3) | instid1(VALU_DEP_1)
	s_and_b32 vcc_lo, exec_lo, s1
	s_waitcnt lgkmcnt(3)
	v_add_f32_e32 v0, v0, v1
	s_waitcnt lgkmcnt(2)
	v_add_f32_e32 v0, v5, v0
	s_delay_alu instid0(VALU_DEP_1)
	v_add_f32_e32 v0, v6, v0
	ds_load_2addr_stride64_b32 v[5:6], v3 offset0:10 offset1:11
	s_waitcnt lgkmcnt(2)
	v_add_f32_e32 v2, v7, v0
	ds_load_2addr_stride64_b32 v[0:1], v3 offset0:8 offset1:9
	v_add_f32_e32 v2, v8, v2
	s_waitcnt lgkmcnt(2)
	s_delay_alu instid0(VALU_DEP_1) | instskip(NEXT) | instid1(VALU_DEP_1)
	v_add_f32_e32 v2, v9, v2
	v_add_f32_e32 v2, v10, v2
	ds_load_2addr_stride64_b32 v[7:8], v3 offset0:12 offset1:13
	ds_load_2addr_stride64_b32 v[9:10], v3 offset0:14 offset1:15
	s_waitcnt lgkmcnt(2)
	v_add_f32_e32 v0, v0, v2
	s_delay_alu instid0(VALU_DEP_1) | instskip(NEXT) | instid1(VALU_DEP_1)
	v_add_f32_e32 v0, v1, v0
	v_add_f32_e32 v0, v5, v0
	v_ashrrev_i32_e32 v5, 31, v4
	s_delay_alu instid0(VALU_DEP_2) | instskip(SKIP_2) | instid1(VALU_DEP_2)
	v_add_f32_e32 v0, v6, v0
	v_mul_lo_u32 v6, v4, s3
	s_waitcnt lgkmcnt(1)
	v_add_f32_e32 v0, v7, v0
	s_delay_alu instid0(VALU_DEP_1) | instskip(SKIP_3) | instid1(VALU_DEP_3)
	v_add_f32_e32 v2, v8, v0
	v_mad_u64_u32 v[0:1], null, v4, s2, 0
	v_mul_lo_u32 v4, v5, s2
	s_waitcnt lgkmcnt(0)
	v_add_f32_e32 v2, v9, v2
	s_delay_alu instid0(VALU_DEP_1) | instskip(NEXT) | instid1(VALU_DEP_3)
	v_add_f32_e32 v5, v10, v2
	v_add3_u32 v1, v1, v6, v4
	s_delay_alu instid0(VALU_DEP_2)
	v_mul_f32_e32 v2, s6, v5
	ds_store_b32 v3, v5
	s_cbranch_vccnz .LBB5_29
; %bb.28:
	v_lshlrev_b64 v[3:4], 2, v[0:1]
	s_delay_alu instid0(VALU_DEP_1) | instskip(NEXT) | instid1(VALU_DEP_2)
	v_add_co_u32 v3, vcc_lo, s18, v3
	v_add_co_ci_u32_e32 v4, vcc_lo, s19, v4, vcc_lo
	global_load_b32 v3, v[3:4], off
	s_waitcnt vmcnt(0)
	v_fmac_f32_e32 v2, s7, v3
.LBB5_29:
	s_or_b32 s20, s20, exec_lo
.LBB5_30:
	s_or_b32 exec_lo, exec_lo, s0
.LBB5_31:
	s_and_saveexec_b32 s0, s20
	s_cbranch_execz .LBB5_33
; %bb.32:
	v_lshlrev_b64 v[0:1], 2, v[0:1]
	s_delay_alu instid0(VALU_DEP_1) | instskip(NEXT) | instid1(VALU_DEP_2)
	v_add_co_u32 v0, vcc_lo, s18, v0
	v_add_co_ci_u32_e32 v1, vcc_lo, s19, v1, vcc_lo
	global_store_b32 v[0:1], v2, off
.LBB5_33:
	s_nop 0
	s_sendmsg sendmsg(MSG_DEALLOC_VGPRS)
	s_endpgm
	.section	.rodata,"a",@progbits
	.p2align	6, 0x0
	.amdhsa_kernel _ZL19rocblas_spmv_kernelILi64ELi16EfPKPKfPKPfEvbiT1_lT2_llS8_lllS7_lT3_llli
		.amdhsa_group_segment_fixed_size 4096
		.amdhsa_private_segment_fixed_size 0
		.amdhsa_kernarg_size 392
		.amdhsa_user_sgpr_count 14
		.amdhsa_user_sgpr_dispatch_ptr 0
		.amdhsa_user_sgpr_queue_ptr 0
		.amdhsa_user_sgpr_kernarg_segment_ptr 1
		.amdhsa_user_sgpr_dispatch_id 0
		.amdhsa_user_sgpr_private_segment_size 0
		.amdhsa_wavefront_size32 1
		.amdhsa_uses_dynamic_stack 0
		.amdhsa_enable_private_segment 0
		.amdhsa_system_sgpr_workgroup_id_x 1
		.amdhsa_system_sgpr_workgroup_id_y 0
		.amdhsa_system_sgpr_workgroup_id_z 1
		.amdhsa_system_sgpr_workgroup_info 0
		.amdhsa_system_vgpr_workitem_id 1
		.amdhsa_next_free_vgpr 13
		.amdhsa_next_free_sgpr 24
		.amdhsa_reserve_vcc 1
		.amdhsa_float_round_mode_32 0
		.amdhsa_float_round_mode_16_64 0
		.amdhsa_float_denorm_mode_32 3
		.amdhsa_float_denorm_mode_16_64 3
		.amdhsa_dx10_clamp 1
		.amdhsa_ieee_mode 1
		.amdhsa_fp16_overflow 0
		.amdhsa_workgroup_processor_mode 1
		.amdhsa_memory_ordered 1
		.amdhsa_forward_progress 0
		.amdhsa_shared_vgpr_count 0
		.amdhsa_exception_fp_ieee_invalid_op 0
		.amdhsa_exception_fp_denorm_src 0
		.amdhsa_exception_fp_ieee_div_zero 0
		.amdhsa_exception_fp_ieee_overflow 0
		.amdhsa_exception_fp_ieee_underflow 0
		.amdhsa_exception_fp_ieee_inexact 0
		.amdhsa_exception_int_div_zero 0
	.end_amdhsa_kernel
	.section	.text._ZL19rocblas_spmv_kernelILi64ELi16EfPKPKfPKPfEvbiT1_lT2_llS8_lllS7_lT3_llli,"axG",@progbits,_ZL19rocblas_spmv_kernelILi64ELi16EfPKPKfPKPfEvbiT1_lT2_llS8_lllS7_lT3_llli,comdat
.Lfunc_end5:
	.size	_ZL19rocblas_spmv_kernelILi64ELi16EfPKPKfPKPfEvbiT1_lT2_llS8_lllS7_lT3_llli, .Lfunc_end5-_ZL19rocblas_spmv_kernelILi64ELi16EfPKPKfPKPfEvbiT1_lT2_llS8_lllS7_lT3_llli
                                        ; -- End function
	.section	.AMDGPU.csdata,"",@progbits
; Kernel info:
; codeLenInByte = 1436
; NumSgprs: 26
; NumVgprs: 13
; ScratchSize: 0
; MemoryBound: 0
; FloatMode: 240
; IeeeMode: 1
; LDSByteSize: 4096 bytes/workgroup (compile time only)
; SGPRBlocks: 3
; VGPRBlocks: 1
; NumSGPRsForWavesPerEU: 26
; NumVGPRsForWavesPerEU: 13
; Occupancy: 16
; WaveLimiterHint : 1
; COMPUTE_PGM_RSRC2:SCRATCH_EN: 0
; COMPUTE_PGM_RSRC2:USER_SGPR: 14
; COMPUTE_PGM_RSRC2:TRAP_HANDLER: 0
; COMPUTE_PGM_RSRC2:TGID_X_EN: 1
; COMPUTE_PGM_RSRC2:TGID_Y_EN: 0
; COMPUTE_PGM_RSRC2:TGID_Z_EN: 1
; COMPUTE_PGM_RSRC2:TIDIG_COMP_CNT: 1
	.section	.text._ZL19rocblas_spmv_kernelILi64ELi16EPKdPKS1_PKPdEvbiT1_lT2_llS8_lllS7_lT3_llli,"axG",@progbits,_ZL19rocblas_spmv_kernelILi64ELi16EPKdPKS1_PKPdEvbiT1_lT2_llS8_lllS7_lT3_llli,comdat
	.globl	_ZL19rocblas_spmv_kernelILi64ELi16EPKdPKS1_PKPdEvbiT1_lT2_llS8_lllS7_lT3_llli ; -- Begin function _ZL19rocblas_spmv_kernelILi64ELi16EPKdPKS1_PKPdEvbiT1_lT2_llS8_lllS7_lT3_llli
	.p2align	8
	.type	_ZL19rocblas_spmv_kernelILi64ELi16EPKdPKS1_PKPdEvbiT1_lT2_llS8_lllS7_lT3_llli,@function
_ZL19rocblas_spmv_kernelILi64ELi16EPKdPKS1_PKPdEvbiT1_lT2_llS8_lllS7_lT3_llli: ; @_ZL19rocblas_spmv_kernelILi64ELi16EPKdPKS1_PKPdEvbiT1_lT2_llS8_lllS7_lT3_llli
; %bb.0:
	s_load_b64 s[2:3], s[0:1], 0x94
	s_mov_b32 s4, s15
	s_waitcnt lgkmcnt(0)
	s_lshr_b32 s5, s2, 16
	s_and_b32 s15, s2, 0xffff
	s_and_b32 s2, s3, 0xffff
	s_mul_i32 s3, s5, s15
	s_delay_alu instid0(SALU_CYCLE_1) | instskip(NEXT) | instid1(SALU_CYCLE_1)
	s_mul_i32 s3, s3, s2
	s_cmpk_lg_i32 s3, 0x400
	s_cbranch_scc1 .LBB6_31
; %bb.1:
	s_clause 0x1
	s_load_b128 s[8:11], s[0:1], 0x8
	s_load_b128 s[16:19], s[0:1], 0x50
	s_waitcnt lgkmcnt(0)
	s_mul_i32 s3, s4, s11
	s_mul_hi_u32 s5, s4, s10
	s_mul_i32 s2, s4, s10
	s_add_i32 s3, s5, s3
	s_mul_i32 s5, s4, s19
	s_lshl_b64 s[2:3], s[2:3], 3
	s_mul_hi_u32 s6, s4, s18
	s_add_u32 s2, s8, s2
	s_addc_u32 s3, s9, s3
	s_add_i32 s7, s6, s5
	s_mul_i32 s6, s4, s18
	s_delay_alu instid0(SALU_CYCLE_1) | instskip(NEXT) | instid1(SALU_CYCLE_1)
	s_lshl_b64 s[6:7], s[6:7], 3
	s_add_u32 s6, s16, s6
	s_addc_u32 s7, s17, s7
	s_load_b64 s[12:13], s[2:3], 0x0
	s_load_b64 s[2:3], s[6:7], 0x0
	s_mov_b64 s[16:17], 0
	s_waitcnt lgkmcnt(0)
	v_cmp_eq_f64_e64 s22, s[12:13], 0
	v_cmp_eq_f64_e64 s5, s[2:3], 1.0
	s_delay_alu instid0(VALU_DEP_1) | instskip(NEXT) | instid1(SALU_CYCLE_1)
	s_and_b32 s5, s22, s5
	s_and_b32 vcc_lo, exec_lo, s5
	s_cbranch_vccnz .LBB6_31
; %bb.2:
	v_cmp_neq_f64_e64 s6, s[12:13], 0
	s_load_b64 s[20:21], s[0:1], 0x60
	s_and_b32 vcc_lo, exec_lo, s22
	s_mov_b32 s5, 0
	s_cbranch_vccnz .LBB6_4
; %bb.3:
	s_load_b128 s[8:11], s[0:1], 0x18
	s_lshl_b64 s[16:17], s[4:5], 3
	s_waitcnt lgkmcnt(0)
	s_add_u32 s8, s8, s16
	s_addc_u32 s9, s9, s17
	s_lshl_b64 s[10:11], s[10:11], 3
	s_load_b64 s[8:9], s[8:9], 0x0
	s_waitcnt lgkmcnt(0)
	s_add_u32 s16, s8, s10
	s_addc_u32 s17, s9, s11
.LBB6_4:
	s_load_b128 s[8:11], s[0:1], 0x38
	s_delay_alu instid0(VALU_DEP_1)
	s_and_not1_b32 vcc_lo, exec_lo, s6
	s_cbranch_vccnz .LBB6_6
; %bb.5:
	s_load_b64 s[6:7], s[0:1], 0x30
	s_lshl_b64 s[18:19], s[4:5], 3
	s_waitcnt lgkmcnt(0)
	s_add_u32 s6, s6, s18
	s_addc_u32 s7, s7, s19
	s_lshl_b64 s[8:9], s[8:9], 3
	s_load_b64 s[6:7], s[6:7], 0x0
	s_waitcnt lgkmcnt(0)
	s_add_u32 s18, s6, s8
	s_addc_u32 s19, s7, s9
	s_branch .LBB6_7
.LBB6_6:
	s_mov_b64 s[18:19], 0
.LBB6_7:
	s_waitcnt lgkmcnt(0)
	s_lshl_b64 s[8:9], s[4:5], 3
	s_load_b128 s[4:7], s[0:1], 0x68
	s_add_u32 s8, s20, s8
	s_addc_u32 s9, s21, s9
	v_and_b32_e32 v1, 0x3ff, v0
	s_load_b64 s[20:21], s[8:9], 0x0
	s_load_b64 s[8:9], s[0:1], 0x0
	v_bfe_u32 v0, v0, 10, 10
	s_delay_alu instid0(VALU_DEP_1) | instskip(NEXT) | instid1(VALU_DEP_1)
	v_mad_u32_u24 v7, v0, s15, v1
	v_cmp_gt_u32_e64 s0, 64, v7
	s_waitcnt lgkmcnt(0)
	s_lshl_b64 s[4:5], s[4:5], 3
	s_delay_alu instid0(SALU_CYCLE_1)
	s_add_u32 s20, s20, s4
	s_addc_u32 s21, s21, s5
	s_and_not1_b32 vcc_lo, exec_lo, s22
	s_cbranch_vccnz .LBB6_12
; %bb.8:
	v_lshl_add_u32 v4, s14, 6, v7
	s_mov_b32 s1, 0
	s_mov_b32 s22, 0
                                        ; implicit-def: $vgpr2_vgpr3
                                        ; implicit-def: $vgpr0_vgpr1
	s_delay_alu instid0(VALU_DEP_1) | instskip(SKIP_1) | instid1(SALU_CYCLE_1)
	v_cmp_gt_i32_e32 vcc_lo, s9, v4
	s_and_b32 s4, s0, vcc_lo
	s_and_saveexec_b32 s0, s4
	s_cbranch_execz .LBB6_13
; %bb.9:
	v_cmp_eq_f64_e64 s4, s[2:3], 0
	v_ashrrev_i32_e32 v0, 31, v4
	v_mul_lo_u32 v2, v4, s7
	s_delay_alu instid0(VALU_DEP_2) | instskip(SKIP_1) | instid1(VALU_DEP_1)
	v_mul_lo_u32 v3, v0, s6
	v_mad_u64_u32 v[0:1], null, v4, s6, 0
	v_add3_u32 v1, v1, v2, v3
	v_mov_b32_e32 v2, 0
	v_mov_b32_e32 v3, 0
	s_and_b32 vcc_lo, exec_lo, s4
	s_cbranch_vccnz .LBB6_11
; %bb.10:
	s_delay_alu instid0(VALU_DEP_4) | instskip(NEXT) | instid1(VALU_DEP_1)
	v_lshlrev_b64 v[2:3], 3, v[0:1]
	v_add_co_u32 v2, vcc_lo, s20, v2
	s_delay_alu instid0(VALU_DEP_2)
	v_add_co_ci_u32_e32 v3, vcc_lo, s21, v3, vcc_lo
	global_load_b64 v[2:3], v[2:3], off
	s_waitcnt vmcnt(0)
	v_mul_f64 v[2:3], s[2:3], v[2:3]
.LBB6_11:
	s_mov_b32 s22, exec_lo
	s_or_b32 exec_lo, exec_lo, s0
	s_delay_alu instid0(SALU_CYCLE_1)
	s_and_b32 vcc_lo, exec_lo, s1
	s_cbranch_vccnz .LBB6_14
	s_branch .LBB6_29
.LBB6_12:
	s_mov_b32 s22, 0
                                        ; implicit-def: $vgpr2_vgpr3
                                        ; implicit-def: $vgpr0_vgpr1
	s_cbranch_execnz .LBB6_14
	s_branch .LBB6_29
.LBB6_13:
	s_or_b32 exec_lo, exec_lo, s0
	s_delay_alu instid0(SALU_CYCLE_1)
	s_and_b32 vcc_lo, exec_lo, s1
	s_cbranch_vccz .LBB6_29
.LBB6_14:
	v_mov_b32_e32 v0, 0
	v_lshrrev_b32_e32 v8, 6, v7
	v_mov_b32_e32 v1, 0
	s_lshl_b32 s23, s14, 6
	s_mov_b32 s24, exec_lo
	s_delay_alu instid0(VALU_DEP_2)
	v_cmpx_gt_i32_e64 s9, v8
	s_cbranch_execz .LBB6_24
; %bb.15:
	v_lshrrev_b32_e32 v4, 6, v7
	v_and_or_b32 v9, v7, 63, s23
	s_bitcmp1_b32 s8, 0
	s_mov_b32 s5, 0
	s_mov_b32 s4, s9
	v_mad_u64_u32 v[0:1], null, s10, v4, 0
	v_cmp_gt_i32_e64 s0, s9, v9
	s_cselect_b32 s8, -1, 0
	s_lshl_b64 s[14:15], s[4:5], 1
	s_xor_b32 s4, s8, -1
	s_or_b32 s14, s14, 1
	s_delay_alu instid0(VALU_DEP_2) | instskip(SKIP_1) | instid1(VALU_DEP_1)
	v_mad_u64_u32 v[2:3], null, s11, v4, v[1:2]
	s_lshl_b64 s[10:11], s[10:11], 7
	v_mov_b32_e32 v1, v2
	s_delay_alu instid0(VALU_DEP_1) | instskip(SKIP_2) | instid1(VALU_DEP_3)
	v_lshlrev_b64 v[2:3], 3, v[0:1]
	v_mov_b32_e32 v0, 0
	v_mov_b32_e32 v1, 0
	v_add_co_u32 v2, vcc_lo, s18, v2
	s_delay_alu instid0(VALU_DEP_4)
	v_add_co_ci_u32_e32 v3, vcc_lo, s19, v3, vcc_lo
	s_branch .LBB6_18
.LBB6_16:                               ;   in Loop: Header=BB6_18 Depth=1
	s_delay_alu instid0(VALU_DEP_2) | instskip(SKIP_3) | instid1(VALU_DEP_1)
	v_mul_lo_u32 v6, v6, v10
	v_mul_lo_u32 v13, v5, v11
	v_mad_u64_u32 v[11:12], null, v5, v10, 0
	v_ashrrev_i32_e32 v5, 31, v4
	v_lshlrev_b64 v[4:5], 3, v[4:5]
	s_delay_alu instid0(VALU_DEP_3) | instskip(NEXT) | instid1(VALU_DEP_1)
	v_add3_u32 v12, v12, v13, v6
	v_lshlrev_b64 v[10:11], 2, v[11:12]
	s_delay_alu instid0(VALU_DEP_1) | instskip(NEXT) | instid1(VALU_DEP_1)
	v_and_b32_e32 v6, -8, v10
	v_add_co_u32 v6, vcc_lo, s16, v6
	s_delay_alu instid0(VALU_DEP_3) | instskip(NEXT) | instid1(VALU_DEP_2)
	v_add_co_ci_u32_e32 v10, vcc_lo, s17, v11, vcc_lo
	v_add_co_u32 v4, vcc_lo, v6, v4
	s_delay_alu instid0(VALU_DEP_2)
	v_add_co_ci_u32_e32 v5, vcc_lo, v10, v5, vcc_lo
	flat_load_b64 v[4:5], v[4:5]
	flat_load_b64 v[10:11], v[2:3]
	s_waitcnt vmcnt(0) lgkmcnt(0)
	v_fma_f64 v[0:1], v[4:5], v[10:11], v[0:1]
.LBB6_17:                               ;   in Loop: Header=BB6_18 Depth=1
	s_or_b32 exec_lo, exec_lo, s18
	v_add_nc_u32_e32 v8, 16, v8
	v_add_co_u32 v2, s1, v2, s10
	s_delay_alu instid0(VALU_DEP_1) | instskip(NEXT) | instid1(VALU_DEP_3)
	v_add_co_ci_u32_e64 v3, s1, s11, v3, s1
	v_cmp_le_i32_e32 vcc_lo, s9, v8
	s_or_b32 s5, vcc_lo, s5
	s_delay_alu instid0(SALU_CYCLE_1)
	s_and_not1_b32 exec_lo, exec_lo, s5
	s_cbranch_execz .LBB6_23
.LBB6_18:                               ; =>This Inner Loop Header: Depth=1
	s_and_saveexec_b32 s18, s0
	s_cbranch_execz .LBB6_17
; %bb.19:                               ;   in Loop: Header=BB6_18 Depth=1
	v_cmp_le_i32_e32 vcc_lo, v9, v8
	v_cmp_ge_i32_e64 s1, v9, v8
	s_or_b32 s19, vcc_lo, s4
	s_delay_alu instid0(VALU_DEP_1) | instskip(NEXT) | instid1(SALU_CYCLE_1)
	s_or_b32 s1, s1, s8
	s_and_b32 vcc_lo, s19, s1
	s_mov_b32 s1, -1
	v_cndmask_b32_e32 v10, v9, v8, vcc_lo
	v_cndmask_b32_e32 v12, v8, v9, vcc_lo
	s_and_b32 vcc_lo, exec_lo, s4
	s_delay_alu instid0(VALU_DEP_2)
	v_ashrrev_i32_e32 v11, 31, v10
	s_cbranch_vccz .LBB6_21
; %bb.20:                               ;   in Loop: Header=BB6_18 Depth=1
	v_sub_co_u32 v5, vcc_lo, s14, v10
	s_delay_alu instid0(VALU_DEP_2)
	v_sub_co_ci_u32_e32 v6, vcc_lo, s15, v11, vcc_lo
	v_sub_nc_u32_e32 v4, v12, v10
	s_cbranch_execnz .LBB6_16
	s_branch .LBB6_22
.LBB6_21:                               ;   in Loop: Header=BB6_18 Depth=1
                                        ; implicit-def: $vgpr5_vgpr6
                                        ; implicit-def: $vgpr4
	s_and_not1_b32 vcc_lo, exec_lo, s1
	s_cbranch_vccnz .LBB6_16
.LBB6_22:                               ;   in Loop: Header=BB6_18 Depth=1
	v_add_co_u32 v5, vcc_lo, v10, 1
	v_add_co_ci_u32_e32 v6, vcc_lo, 0, v11, vcc_lo
	v_mov_b32_e32 v4, v12
	s_branch .LBB6_16
.LBB6_23:
	s_or_b32 exec_lo, exec_lo, s5
.LBB6_24:
	s_delay_alu instid0(SALU_CYCLE_1) | instskip(SKIP_3) | instid1(VALU_DEP_3)
	s_or_b32 exec_lo, exec_lo, s24
	v_add_nc_u32_e32 v5, s23, v7
	v_cmp_gt_u32_e32 vcc_lo, 64, v7
	v_lshlrev_b32_e32 v4, 3, v7
                                        ; implicit-def: $vgpr2_vgpr3
	v_cmp_gt_i32_e64 s0, s9, v5
	ds_store_b64 v4, v[0:1]
	s_waitcnt lgkmcnt(0)
	s_barrier
	s_and_b32 s1, vcc_lo, s0
	buffer_gl0_inv
                                        ; implicit-def: $vgpr0_vgpr1
	s_and_saveexec_b32 s0, s1
	s_cbranch_execz .LBB6_28
; %bb.25:
	ds_load_2addr_stride64_b64 v[0:3], v4 offset1:1
	ds_load_2addr_stride64_b64 v[6:9], v4 offset0:2 offset1:3
	v_cmp_eq_f64_e64 s1, s[2:3], 0
	s_waitcnt lgkmcnt(1)
	v_add_f64 v[0:1], v[0:1], v[2:3]
	s_delay_alu instid0(VALU_DEP_2) | instskip(SKIP_1) | instid1(VALU_DEP_1)
	s_and_b32 vcc_lo, exec_lo, s1
	s_waitcnt lgkmcnt(0)
	v_add_f64 v[0:1], v[6:7], v[0:1]
	s_delay_alu instid0(VALU_DEP_1) | instskip(SKIP_4) | instid1(VALU_DEP_1)
	v_add_f64 v[10:11], v[8:9], v[0:1]
	ds_load_2addr_stride64_b64 v[0:3], v4 offset0:4 offset1:5
	ds_load_2addr_stride64_b64 v[6:9], v4 offset0:6 offset1:7
	s_waitcnt lgkmcnt(1)
	v_add_f64 v[0:1], v[0:1], v[10:11]
	v_add_f64 v[0:1], v[2:3], v[0:1]
	s_waitcnt lgkmcnt(0)
	s_delay_alu instid0(VALU_DEP_1) | instskip(NEXT) | instid1(VALU_DEP_1)
	v_add_f64 v[0:1], v[6:7], v[0:1]
	v_add_f64 v[10:11], v[8:9], v[0:1]
	ds_load_2addr_stride64_b64 v[0:3], v4 offset0:8 offset1:9
	ds_load_2addr_stride64_b64 v[6:9], v4 offset0:10 offset1:11
	s_waitcnt lgkmcnt(1)
	v_add_f64 v[0:1], v[0:1], v[10:11]
	s_delay_alu instid0(VALU_DEP_1) | instskip(SKIP_1) | instid1(VALU_DEP_1)
	v_add_f64 v[0:1], v[2:3], v[0:1]
	s_waitcnt lgkmcnt(0)
	v_add_f64 v[0:1], v[6:7], v[0:1]
	s_delay_alu instid0(VALU_DEP_1) | instskip(SKIP_4) | instid1(VALU_DEP_1)
	v_add_f64 v[10:11], v[8:9], v[0:1]
	ds_load_2addr_stride64_b64 v[0:3], v4 offset0:12 offset1:13
	ds_load_2addr_stride64_b64 v[6:9], v4 offset0:14 offset1:15
	s_waitcnt lgkmcnt(1)
	v_add_f64 v[0:1], v[0:1], v[10:11]
	v_add_f64 v[0:1], v[2:3], v[0:1]
	s_waitcnt lgkmcnt(0)
	s_delay_alu instid0(VALU_DEP_1) | instskip(NEXT) | instid1(VALU_DEP_1)
	v_add_f64 v[0:1], v[6:7], v[0:1]
	v_add_f64 v[6:7], v[8:9], v[0:1]
	v_ashrrev_i32_e32 v0, 31, v5
	v_mul_lo_u32 v8, v5, s7
	s_delay_alu instid0(VALU_DEP_2) | instskip(SKIP_1) | instid1(VALU_DEP_1)
	v_mul_lo_u32 v9, v0, s6
	v_mad_u64_u32 v[0:1], null, v5, s6, 0
	v_add3_u32 v1, v1, v8, v9
	v_mul_f64 v[2:3], s[12:13], v[6:7]
	ds_store_b64 v4, v[6:7]
	s_cbranch_vccnz .LBB6_27
; %bb.26:
	v_lshlrev_b64 v[4:5], 3, v[0:1]
	s_delay_alu instid0(VALU_DEP_1) | instskip(NEXT) | instid1(VALU_DEP_2)
	v_add_co_u32 v4, vcc_lo, s20, v4
	v_add_co_ci_u32_e32 v5, vcc_lo, s21, v5, vcc_lo
	global_load_b64 v[4:5], v[4:5], off
	s_waitcnt vmcnt(0)
	v_fma_f64 v[2:3], s[2:3], v[4:5], v[2:3]
.LBB6_27:
	s_or_b32 s22, s22, exec_lo
.LBB6_28:
	s_or_b32 exec_lo, exec_lo, s0
.LBB6_29:
	s_and_saveexec_b32 s0, s22
	s_cbranch_execz .LBB6_31
; %bb.30:
	v_lshlrev_b64 v[0:1], 3, v[0:1]
	s_delay_alu instid0(VALU_DEP_1) | instskip(NEXT) | instid1(VALU_DEP_2)
	v_add_co_u32 v0, vcc_lo, s20, v0
	v_add_co_ci_u32_e32 v1, vcc_lo, s21, v1, vcc_lo
	global_store_b64 v[0:1], v[2:3], off
.LBB6_31:
	s_nop 0
	s_sendmsg sendmsg(MSG_DEALLOC_VGPRS)
	s_endpgm
	.section	.rodata,"a",@progbits
	.p2align	6, 0x0
	.amdhsa_kernel _ZL19rocblas_spmv_kernelILi64ELi16EPKdPKS1_PKPdEvbiT1_lT2_llS8_lllS7_lT3_llli
		.amdhsa_group_segment_fixed_size 8192
		.amdhsa_private_segment_fixed_size 0
		.amdhsa_kernarg_size 392
		.amdhsa_user_sgpr_count 14
		.amdhsa_user_sgpr_dispatch_ptr 0
		.amdhsa_user_sgpr_queue_ptr 0
		.amdhsa_user_sgpr_kernarg_segment_ptr 1
		.amdhsa_user_sgpr_dispatch_id 0
		.amdhsa_user_sgpr_private_segment_size 0
		.amdhsa_wavefront_size32 1
		.amdhsa_uses_dynamic_stack 0
		.amdhsa_enable_private_segment 0
		.amdhsa_system_sgpr_workgroup_id_x 1
		.amdhsa_system_sgpr_workgroup_id_y 0
		.amdhsa_system_sgpr_workgroup_id_z 1
		.amdhsa_system_sgpr_workgroup_info 0
		.amdhsa_system_vgpr_workitem_id 1
		.amdhsa_next_free_vgpr 14
		.amdhsa_next_free_sgpr 25
		.amdhsa_reserve_vcc 1
		.amdhsa_float_round_mode_32 0
		.amdhsa_float_round_mode_16_64 0
		.amdhsa_float_denorm_mode_32 3
		.amdhsa_float_denorm_mode_16_64 3
		.amdhsa_dx10_clamp 1
		.amdhsa_ieee_mode 1
		.amdhsa_fp16_overflow 0
		.amdhsa_workgroup_processor_mode 1
		.amdhsa_memory_ordered 1
		.amdhsa_forward_progress 0
		.amdhsa_shared_vgpr_count 0
		.amdhsa_exception_fp_ieee_invalid_op 0
		.amdhsa_exception_fp_denorm_src 0
		.amdhsa_exception_fp_ieee_div_zero 0
		.amdhsa_exception_fp_ieee_overflow 0
		.amdhsa_exception_fp_ieee_underflow 0
		.amdhsa_exception_fp_ieee_inexact 0
		.amdhsa_exception_int_div_zero 0
	.end_amdhsa_kernel
	.section	.text._ZL19rocblas_spmv_kernelILi64ELi16EPKdPKS1_PKPdEvbiT1_lT2_llS8_lllS7_lT3_llli,"axG",@progbits,_ZL19rocblas_spmv_kernelILi64ELi16EPKdPKS1_PKPdEvbiT1_lT2_llS8_lllS7_lT3_llli,comdat
.Lfunc_end6:
	.size	_ZL19rocblas_spmv_kernelILi64ELi16EPKdPKS1_PKPdEvbiT1_lT2_llS8_lllS7_lT3_llli, .Lfunc_end6-_ZL19rocblas_spmv_kernelILi64ELi16EPKdPKS1_PKPdEvbiT1_lT2_llS8_lllS7_lT3_llli
                                        ; -- End function
	.section	.AMDGPU.csdata,"",@progbits
; Kernel info:
; codeLenInByte = 1584
; NumSgprs: 27
; NumVgprs: 14
; ScratchSize: 0
; MemoryBound: 0
; FloatMode: 240
; IeeeMode: 1
; LDSByteSize: 8192 bytes/workgroup (compile time only)
; SGPRBlocks: 3
; VGPRBlocks: 1
; NumSGPRsForWavesPerEU: 27
; NumVGPRsForWavesPerEU: 14
; Occupancy: 16
; WaveLimiterHint : 1
; COMPUTE_PGM_RSRC2:SCRATCH_EN: 0
; COMPUTE_PGM_RSRC2:USER_SGPR: 14
; COMPUTE_PGM_RSRC2:TRAP_HANDLER: 0
; COMPUTE_PGM_RSRC2:TGID_X_EN: 1
; COMPUTE_PGM_RSRC2:TGID_Y_EN: 0
; COMPUTE_PGM_RSRC2:TGID_Z_EN: 1
; COMPUTE_PGM_RSRC2:TIDIG_COMP_CNT: 1
	.section	.text._ZL19rocblas_spmv_kernelILi64ELi16EdPKPKdPKPdEvbiT1_lT2_llS8_lllS7_lT3_llli,"axG",@progbits,_ZL19rocblas_spmv_kernelILi64ELi16EdPKPKdPKPdEvbiT1_lT2_llS8_lllS7_lT3_llli,comdat
	.globl	_ZL19rocblas_spmv_kernelILi64ELi16EdPKPKdPKPdEvbiT1_lT2_llS8_lllS7_lT3_llli ; -- Begin function _ZL19rocblas_spmv_kernelILi64ELi16EdPKPKdPKPdEvbiT1_lT2_llS8_lllS7_lT3_llli
	.p2align	8
	.type	_ZL19rocblas_spmv_kernelILi64ELi16EdPKPKdPKPdEvbiT1_lT2_llS8_lllS7_lT3_llli,@function
_ZL19rocblas_spmv_kernelILi64ELi16EdPKPKdPKPdEvbiT1_lT2_llS8_lllS7_lT3_llli: ; @_ZL19rocblas_spmv_kernelILi64ELi16EdPKPKdPKPdEvbiT1_lT2_llS8_lllS7_lT3_llli
; %bb.0:
	s_load_b64 s[2:3], s[0:1], 0x94
	s_mov_b32 s4, s15
	s_waitcnt lgkmcnt(0)
	s_lshr_b32 s5, s2, 16
	s_and_b32 s15, s2, 0xffff
	s_and_b32 s2, s3, 0xffff
	s_mul_i32 s3, s5, s15
	s_delay_alu instid0(SALU_CYCLE_1) | instskip(NEXT) | instid1(SALU_CYCLE_1)
	s_mul_i32 s3, s3, s2
	s_cmpk_lg_i32 s3, 0x400
	s_cbranch_scc1 .LBB7_33
; %bb.1:
	s_clause 0x1
	s_load_b64 s[12:13], s[0:1], 0x8
	s_load_b64 s[2:3], s[0:1], 0x50
	s_waitcnt lgkmcnt(0)
	v_cmp_eq_f64_e64 s22, s[12:13], 0
	v_cmp_eq_f64_e64 s5, s[2:3], 1.0
	s_delay_alu instid0(VALU_DEP_1) | instskip(NEXT) | instid1(SALU_CYCLE_1)
	s_and_b32 s5, s22, s5
	s_and_b32 vcc_lo, exec_lo, s5
	s_cbranch_vccnz .LBB7_33
; %bb.2:
	v_cmp_neq_f64_e64 s6, s[12:13], 0
	s_delay_alu instid0(VALU_DEP_1)
	s_and_b32 vcc_lo, exec_lo, s6
	s_cbranch_vccnz .LBB7_4
; %bb.3:
	s_mov_b32 s5, 0
	s_mov_b64 s[16:17], 0
	s_load_b64 s[20:21], s[0:1], 0x60
	s_cbranch_execz .LBB7_5
	s_branch .LBB7_6
.LBB7_4:
	s_mov_b32 s5, -1
                                        ; implicit-def: $sgpr16_sgpr17
	s_load_b64 s[20:21], s[0:1], 0x60
.LBB7_5:
	s_load_b128 s[8:11], s[0:1], 0x18
	s_mov_b32 s5, 0
	s_delay_alu instid0(SALU_CYCLE_1)
	s_lshl_b64 s[16:17], s[4:5], 3
	s_waitcnt lgkmcnt(0)
	s_add_u32 s8, s8, s16
	s_addc_u32 s9, s9, s17
	s_lshl_b64 s[10:11], s[10:11], 3
	s_load_b64 s[8:9], s[8:9], 0x0
	s_waitcnt lgkmcnt(0)
	s_add_u32 s16, s8, s10
	s_addc_u32 s17, s9, s11
.LBB7_6:
	s_load_b128 s[8:11], s[0:1], 0x38
	s_and_not1_b32 vcc_lo, exec_lo, s6
	s_cbranch_vccnz .LBB7_8
; %bb.7:
	s_load_b64 s[6:7], s[0:1], 0x30
	s_lshl_b64 s[18:19], s[4:5], 3
	s_waitcnt lgkmcnt(0)
	s_add_u32 s6, s6, s18
	s_addc_u32 s7, s7, s19
	s_lshl_b64 s[8:9], s[8:9], 3
	s_load_b64 s[6:7], s[6:7], 0x0
	s_waitcnt lgkmcnt(0)
	s_add_u32 s18, s6, s8
	s_addc_u32 s19, s7, s9
	s_branch .LBB7_9
.LBB7_8:
	s_mov_b64 s[18:19], 0
.LBB7_9:
	s_waitcnt lgkmcnt(0)
	s_lshl_b64 s[8:9], s[4:5], 3
	s_load_b128 s[4:7], s[0:1], 0x68
	s_add_u32 s8, s20, s8
	s_addc_u32 s9, s21, s9
	v_and_b32_e32 v1, 0x3ff, v0
	s_load_b64 s[20:21], s[8:9], 0x0
	s_load_b64 s[8:9], s[0:1], 0x0
	v_bfe_u32 v0, v0, 10, 10
	s_delay_alu instid0(VALU_DEP_1) | instskip(NEXT) | instid1(VALU_DEP_1)
	v_mad_u32_u24 v7, v0, s15, v1
	v_cmp_gt_u32_e64 s0, 64, v7
	s_waitcnt lgkmcnt(0)
	s_lshl_b64 s[4:5], s[4:5], 3
	s_delay_alu instid0(SALU_CYCLE_1)
	s_add_u32 s20, s20, s4
	s_addc_u32 s21, s21, s5
	s_and_not1_b32 vcc_lo, exec_lo, s22
	s_cbranch_vccnz .LBB7_14
; %bb.10:
	v_lshl_add_u32 v4, s14, 6, v7
	s_mov_b32 s1, 0
	s_mov_b32 s22, 0
                                        ; implicit-def: $vgpr2_vgpr3
                                        ; implicit-def: $vgpr0_vgpr1
	s_delay_alu instid0(VALU_DEP_1) | instskip(SKIP_1) | instid1(SALU_CYCLE_1)
	v_cmp_gt_i32_e32 vcc_lo, s9, v4
	s_and_b32 s4, s0, vcc_lo
	s_and_saveexec_b32 s0, s4
	s_cbranch_execz .LBB7_15
; %bb.11:
	v_cmp_eq_f64_e64 s4, s[2:3], 0
	v_ashrrev_i32_e32 v0, 31, v4
	v_mul_lo_u32 v2, v4, s7
	s_delay_alu instid0(VALU_DEP_2) | instskip(SKIP_1) | instid1(VALU_DEP_1)
	v_mul_lo_u32 v3, v0, s6
	v_mad_u64_u32 v[0:1], null, v4, s6, 0
	v_add3_u32 v1, v1, v2, v3
	v_mov_b32_e32 v2, 0
	v_mov_b32_e32 v3, 0
	s_and_b32 vcc_lo, exec_lo, s4
	s_cbranch_vccnz .LBB7_13
; %bb.12:
	s_delay_alu instid0(VALU_DEP_4) | instskip(NEXT) | instid1(VALU_DEP_1)
	v_lshlrev_b64 v[2:3], 3, v[0:1]
	v_add_co_u32 v2, vcc_lo, s20, v2
	s_delay_alu instid0(VALU_DEP_2)
	v_add_co_ci_u32_e32 v3, vcc_lo, s21, v3, vcc_lo
	global_load_b64 v[2:3], v[2:3], off
	s_waitcnt vmcnt(0)
	v_mul_f64 v[2:3], v[2:3], s[2:3]
.LBB7_13:
	s_mov_b32 s22, exec_lo
	s_or_b32 exec_lo, exec_lo, s0
	s_delay_alu instid0(SALU_CYCLE_1)
	s_and_b32 vcc_lo, exec_lo, s1
	s_cbranch_vccnz .LBB7_16
	s_branch .LBB7_31
.LBB7_14:
	s_mov_b32 s22, 0
                                        ; implicit-def: $vgpr2_vgpr3
                                        ; implicit-def: $vgpr0_vgpr1
	s_cbranch_execnz .LBB7_16
	s_branch .LBB7_31
.LBB7_15:
	s_or_b32 exec_lo, exec_lo, s0
	s_delay_alu instid0(SALU_CYCLE_1)
	s_and_b32 vcc_lo, exec_lo, s1
	s_cbranch_vccz .LBB7_31
.LBB7_16:
	v_mov_b32_e32 v0, 0
	v_lshrrev_b32_e32 v8, 6, v7
	v_mov_b32_e32 v1, 0
	s_lshl_b32 s23, s14, 6
	s_mov_b32 s24, exec_lo
	s_delay_alu instid0(VALU_DEP_2)
	v_cmpx_gt_i32_e64 s9, v8
	s_cbranch_execz .LBB7_26
; %bb.17:
	v_lshrrev_b32_e32 v4, 6, v7
	v_and_or_b32 v9, v7, 63, s23
	s_bitcmp1_b32 s8, 0
	s_mov_b32 s5, 0
	s_mov_b32 s4, s9
	v_mad_u64_u32 v[0:1], null, s10, v4, 0
	v_cmp_gt_i32_e64 s0, s9, v9
	s_cselect_b32 s8, -1, 0
	s_lshl_b64 s[14:15], s[4:5], 1
	s_xor_b32 s4, s8, -1
	s_or_b32 s14, s14, 1
	s_delay_alu instid0(VALU_DEP_2) | instskip(SKIP_1) | instid1(VALU_DEP_1)
	v_mad_u64_u32 v[2:3], null, s11, v4, v[1:2]
	s_lshl_b64 s[10:11], s[10:11], 7
	v_mov_b32_e32 v1, v2
	s_delay_alu instid0(VALU_DEP_1) | instskip(SKIP_2) | instid1(VALU_DEP_3)
	v_lshlrev_b64 v[2:3], 3, v[0:1]
	v_mov_b32_e32 v0, 0
	v_mov_b32_e32 v1, 0
	v_add_co_u32 v2, vcc_lo, s18, v2
	s_delay_alu instid0(VALU_DEP_4)
	v_add_co_ci_u32_e32 v3, vcc_lo, s19, v3, vcc_lo
	s_branch .LBB7_20
.LBB7_18:                               ;   in Loop: Header=BB7_20 Depth=1
	s_delay_alu instid0(VALU_DEP_2) | instskip(SKIP_3) | instid1(VALU_DEP_1)
	v_mul_lo_u32 v6, v6, v10
	v_mul_lo_u32 v13, v5, v11
	v_mad_u64_u32 v[11:12], null, v5, v10, 0
	v_ashrrev_i32_e32 v5, 31, v4
	v_lshlrev_b64 v[4:5], 3, v[4:5]
	s_delay_alu instid0(VALU_DEP_3) | instskip(NEXT) | instid1(VALU_DEP_1)
	v_add3_u32 v12, v12, v13, v6
	v_lshlrev_b64 v[10:11], 2, v[11:12]
	s_delay_alu instid0(VALU_DEP_1) | instskip(NEXT) | instid1(VALU_DEP_1)
	v_and_b32_e32 v6, -8, v10
	v_add_co_u32 v6, vcc_lo, s16, v6
	s_delay_alu instid0(VALU_DEP_3) | instskip(NEXT) | instid1(VALU_DEP_2)
	v_add_co_ci_u32_e32 v10, vcc_lo, s17, v11, vcc_lo
	v_add_co_u32 v4, vcc_lo, v6, v4
	s_delay_alu instid0(VALU_DEP_2)
	v_add_co_ci_u32_e32 v5, vcc_lo, v10, v5, vcc_lo
	flat_load_b64 v[4:5], v[4:5]
	flat_load_b64 v[10:11], v[2:3]
	s_waitcnt vmcnt(0) lgkmcnt(0)
	v_fma_f64 v[0:1], v[4:5], v[10:11], v[0:1]
.LBB7_19:                               ;   in Loop: Header=BB7_20 Depth=1
	s_or_b32 exec_lo, exec_lo, s18
	v_add_nc_u32_e32 v8, 16, v8
	v_add_co_u32 v2, s1, v2, s10
	s_delay_alu instid0(VALU_DEP_1) | instskip(NEXT) | instid1(VALU_DEP_3)
	v_add_co_ci_u32_e64 v3, s1, s11, v3, s1
	v_cmp_le_i32_e32 vcc_lo, s9, v8
	s_or_b32 s5, vcc_lo, s5
	s_delay_alu instid0(SALU_CYCLE_1)
	s_and_not1_b32 exec_lo, exec_lo, s5
	s_cbranch_execz .LBB7_25
.LBB7_20:                               ; =>This Inner Loop Header: Depth=1
	s_and_saveexec_b32 s18, s0
	s_cbranch_execz .LBB7_19
; %bb.21:                               ;   in Loop: Header=BB7_20 Depth=1
	v_cmp_le_i32_e32 vcc_lo, v9, v8
	v_cmp_ge_i32_e64 s1, v9, v8
	s_or_b32 s19, vcc_lo, s4
	s_delay_alu instid0(VALU_DEP_1) | instskip(NEXT) | instid1(SALU_CYCLE_1)
	s_or_b32 s1, s1, s8
	s_and_b32 vcc_lo, s19, s1
	s_mov_b32 s1, -1
	v_cndmask_b32_e32 v10, v9, v8, vcc_lo
	v_cndmask_b32_e32 v12, v8, v9, vcc_lo
	s_and_b32 vcc_lo, exec_lo, s4
	s_delay_alu instid0(VALU_DEP_2)
	v_ashrrev_i32_e32 v11, 31, v10
	s_cbranch_vccz .LBB7_23
; %bb.22:                               ;   in Loop: Header=BB7_20 Depth=1
	v_sub_co_u32 v5, vcc_lo, s14, v10
	s_delay_alu instid0(VALU_DEP_2)
	v_sub_co_ci_u32_e32 v6, vcc_lo, s15, v11, vcc_lo
	v_sub_nc_u32_e32 v4, v12, v10
	s_cbranch_execnz .LBB7_18
	s_branch .LBB7_24
.LBB7_23:                               ;   in Loop: Header=BB7_20 Depth=1
                                        ; implicit-def: $vgpr5_vgpr6
                                        ; implicit-def: $vgpr4
	s_and_not1_b32 vcc_lo, exec_lo, s1
	s_cbranch_vccnz .LBB7_18
.LBB7_24:                               ;   in Loop: Header=BB7_20 Depth=1
	v_add_co_u32 v5, vcc_lo, v10, 1
	v_add_co_ci_u32_e32 v6, vcc_lo, 0, v11, vcc_lo
	v_mov_b32_e32 v4, v12
	s_branch .LBB7_18
.LBB7_25:
	s_or_b32 exec_lo, exec_lo, s5
.LBB7_26:
	s_delay_alu instid0(SALU_CYCLE_1) | instskip(SKIP_3) | instid1(VALU_DEP_3)
	s_or_b32 exec_lo, exec_lo, s24
	v_add_nc_u32_e32 v5, s23, v7
	v_cmp_gt_u32_e32 vcc_lo, 64, v7
	v_lshlrev_b32_e32 v4, 3, v7
                                        ; implicit-def: $vgpr2_vgpr3
	v_cmp_gt_i32_e64 s0, s9, v5
	ds_store_b64 v4, v[0:1]
	s_waitcnt lgkmcnt(0)
	s_barrier
	s_and_b32 s1, vcc_lo, s0
	buffer_gl0_inv
                                        ; implicit-def: $vgpr0_vgpr1
	s_and_saveexec_b32 s0, s1
	s_cbranch_execz .LBB7_30
; %bb.27:
	ds_load_2addr_stride64_b64 v[0:3], v4 offset1:1
	ds_load_2addr_stride64_b64 v[6:9], v4 offset0:2 offset1:3
	v_cmp_eq_f64_e64 s1, s[2:3], 0
	s_waitcnt lgkmcnt(1)
	v_add_f64 v[0:1], v[0:1], v[2:3]
	s_delay_alu instid0(VALU_DEP_2) | instskip(SKIP_1) | instid1(VALU_DEP_1)
	s_and_b32 vcc_lo, exec_lo, s1
	s_waitcnt lgkmcnt(0)
	v_add_f64 v[0:1], v[6:7], v[0:1]
	s_delay_alu instid0(VALU_DEP_1) | instskip(SKIP_4) | instid1(VALU_DEP_1)
	v_add_f64 v[10:11], v[8:9], v[0:1]
	ds_load_2addr_stride64_b64 v[0:3], v4 offset0:4 offset1:5
	ds_load_2addr_stride64_b64 v[6:9], v4 offset0:6 offset1:7
	s_waitcnt lgkmcnt(1)
	v_add_f64 v[0:1], v[0:1], v[10:11]
	v_add_f64 v[0:1], v[2:3], v[0:1]
	s_waitcnt lgkmcnt(0)
	s_delay_alu instid0(VALU_DEP_1) | instskip(NEXT) | instid1(VALU_DEP_1)
	v_add_f64 v[0:1], v[6:7], v[0:1]
	v_add_f64 v[10:11], v[8:9], v[0:1]
	ds_load_2addr_stride64_b64 v[0:3], v4 offset0:8 offset1:9
	ds_load_2addr_stride64_b64 v[6:9], v4 offset0:10 offset1:11
	s_waitcnt lgkmcnt(1)
	v_add_f64 v[0:1], v[0:1], v[10:11]
	s_delay_alu instid0(VALU_DEP_1) | instskip(SKIP_1) | instid1(VALU_DEP_1)
	v_add_f64 v[0:1], v[2:3], v[0:1]
	s_waitcnt lgkmcnt(0)
	v_add_f64 v[0:1], v[6:7], v[0:1]
	s_delay_alu instid0(VALU_DEP_1) | instskip(SKIP_4) | instid1(VALU_DEP_1)
	v_add_f64 v[10:11], v[8:9], v[0:1]
	ds_load_2addr_stride64_b64 v[0:3], v4 offset0:12 offset1:13
	ds_load_2addr_stride64_b64 v[6:9], v4 offset0:14 offset1:15
	s_waitcnt lgkmcnt(1)
	v_add_f64 v[0:1], v[0:1], v[10:11]
	v_add_f64 v[0:1], v[2:3], v[0:1]
	s_waitcnt lgkmcnt(0)
	s_delay_alu instid0(VALU_DEP_1) | instskip(NEXT) | instid1(VALU_DEP_1)
	v_add_f64 v[0:1], v[6:7], v[0:1]
	v_add_f64 v[6:7], v[8:9], v[0:1]
	v_ashrrev_i32_e32 v0, 31, v5
	v_mul_lo_u32 v8, v5, s7
	s_delay_alu instid0(VALU_DEP_2) | instskip(SKIP_1) | instid1(VALU_DEP_1)
	v_mul_lo_u32 v9, v0, s6
	v_mad_u64_u32 v[0:1], null, v5, s6, 0
	v_add3_u32 v1, v1, v8, v9
	v_mul_f64 v[2:3], v[6:7], s[12:13]
	ds_store_b64 v4, v[6:7]
	s_cbranch_vccnz .LBB7_29
; %bb.28:
	v_lshlrev_b64 v[4:5], 3, v[0:1]
	s_delay_alu instid0(VALU_DEP_1) | instskip(NEXT) | instid1(VALU_DEP_2)
	v_add_co_u32 v4, vcc_lo, s20, v4
	v_add_co_ci_u32_e32 v5, vcc_lo, s21, v5, vcc_lo
	global_load_b64 v[4:5], v[4:5], off
	s_waitcnt vmcnt(0)
	v_fma_f64 v[2:3], v[4:5], s[2:3], v[2:3]
.LBB7_29:
	s_or_b32 s22, s22, exec_lo
.LBB7_30:
	s_or_b32 exec_lo, exec_lo, s0
.LBB7_31:
	s_and_saveexec_b32 s0, s22
	s_cbranch_execz .LBB7_33
; %bb.32:
	v_lshlrev_b64 v[0:1], 3, v[0:1]
	s_delay_alu instid0(VALU_DEP_1) | instskip(NEXT) | instid1(VALU_DEP_2)
	v_add_co_u32 v0, vcc_lo, s20, v0
	v_add_co_ci_u32_e32 v1, vcc_lo, s21, v1, vcc_lo
	global_store_b64 v[0:1], v[2:3], off
.LBB7_33:
	s_nop 0
	s_sendmsg sendmsg(MSG_DEALLOC_VGPRS)
	s_endpgm
	.section	.rodata,"a",@progbits
	.p2align	6, 0x0
	.amdhsa_kernel _ZL19rocblas_spmv_kernelILi64ELi16EdPKPKdPKPdEvbiT1_lT2_llS8_lllS7_lT3_llli
		.amdhsa_group_segment_fixed_size 8192
		.amdhsa_private_segment_fixed_size 0
		.amdhsa_kernarg_size 392
		.amdhsa_user_sgpr_count 14
		.amdhsa_user_sgpr_dispatch_ptr 0
		.amdhsa_user_sgpr_queue_ptr 0
		.amdhsa_user_sgpr_kernarg_segment_ptr 1
		.amdhsa_user_sgpr_dispatch_id 0
		.amdhsa_user_sgpr_private_segment_size 0
		.amdhsa_wavefront_size32 1
		.amdhsa_uses_dynamic_stack 0
		.amdhsa_enable_private_segment 0
		.amdhsa_system_sgpr_workgroup_id_x 1
		.amdhsa_system_sgpr_workgroup_id_y 0
		.amdhsa_system_sgpr_workgroup_id_z 1
		.amdhsa_system_sgpr_workgroup_info 0
		.amdhsa_system_vgpr_workitem_id 1
		.amdhsa_next_free_vgpr 14
		.amdhsa_next_free_sgpr 25
		.amdhsa_reserve_vcc 1
		.amdhsa_float_round_mode_32 0
		.amdhsa_float_round_mode_16_64 0
		.amdhsa_float_denorm_mode_32 3
		.amdhsa_float_denorm_mode_16_64 3
		.amdhsa_dx10_clamp 1
		.amdhsa_ieee_mode 1
		.amdhsa_fp16_overflow 0
		.amdhsa_workgroup_processor_mode 1
		.amdhsa_memory_ordered 1
		.amdhsa_forward_progress 0
		.amdhsa_shared_vgpr_count 0
		.amdhsa_exception_fp_ieee_invalid_op 0
		.amdhsa_exception_fp_denorm_src 0
		.amdhsa_exception_fp_ieee_div_zero 0
		.amdhsa_exception_fp_ieee_overflow 0
		.amdhsa_exception_fp_ieee_underflow 0
		.amdhsa_exception_fp_ieee_inexact 0
		.amdhsa_exception_int_div_zero 0
	.end_amdhsa_kernel
	.section	.text._ZL19rocblas_spmv_kernelILi64ELi16EdPKPKdPKPdEvbiT1_lT2_llS8_lllS7_lT3_llli,"axG",@progbits,_ZL19rocblas_spmv_kernelILi64ELi16EdPKPKdPKPdEvbiT1_lT2_llS8_lllS7_lT3_llli,comdat
.Lfunc_end7:
	.size	_ZL19rocblas_spmv_kernelILi64ELi16EdPKPKdPKPdEvbiT1_lT2_llS8_lllS7_lT3_llli, .Lfunc_end7-_ZL19rocblas_spmv_kernelILi64ELi16EdPKPKdPKPdEvbiT1_lT2_llS8_lllS7_lT3_llli
                                        ; -- End function
	.section	.AMDGPU.csdata,"",@progbits
; Kernel info:
; codeLenInByte = 1532
; NumSgprs: 27
; NumVgprs: 14
; ScratchSize: 0
; MemoryBound: 0
; FloatMode: 240
; IeeeMode: 1
; LDSByteSize: 8192 bytes/workgroup (compile time only)
; SGPRBlocks: 3
; VGPRBlocks: 1
; NumSGPRsForWavesPerEU: 27
; NumVGPRsForWavesPerEU: 14
; Occupancy: 16
; WaveLimiterHint : 1
; COMPUTE_PGM_RSRC2:SCRATCH_EN: 0
; COMPUTE_PGM_RSRC2:USER_SGPR: 14
; COMPUTE_PGM_RSRC2:TRAP_HANDLER: 0
; COMPUTE_PGM_RSRC2:TGID_X_EN: 1
; COMPUTE_PGM_RSRC2:TGID_Y_EN: 0
; COMPUTE_PGM_RSRC2:TGID_Z_EN: 1
; COMPUTE_PGM_RSRC2:TIDIG_COMP_CNT: 1
	.text
	.p2alignl 7, 3214868480
	.fill 96, 4, 3214868480
	.type	__hip_cuid_4bc1115c0e2b840e,@object ; @__hip_cuid_4bc1115c0e2b840e
	.section	.bss,"aw",@nobits
	.globl	__hip_cuid_4bc1115c0e2b840e
__hip_cuid_4bc1115c0e2b840e:
	.byte	0                               ; 0x0
	.size	__hip_cuid_4bc1115c0e2b840e, 1

	.ident	"AMD clang version 19.0.0git (https://github.com/RadeonOpenCompute/llvm-project roc-6.4.0 25133 c7fe45cf4b819c5991fe208aaa96edf142730f1d)"
	.section	".note.GNU-stack","",@progbits
	.addrsig
	.addrsig_sym __hip_cuid_4bc1115c0e2b840e
	.amdgpu_metadata
---
amdhsa.kernels:
  - .args:
      - .offset:         0
        .size:           1
        .value_kind:     by_value
      - .offset:         4
        .size:           4
        .value_kind:     by_value
      - .address_space:  global
        .offset:         8
        .size:           8
        .value_kind:     global_buffer
      - .offset:         16
        .size:           8
        .value_kind:     by_value
      - .actual_access:  read_only
        .address_space:  global
        .offset:         24
        .size:           8
        .value_kind:     global_buffer
      - .offset:         32
        .size:           8
        .value_kind:     by_value
      - .offset:         40
        .size:           8
        .value_kind:     by_value
      - .actual_access:  read_only
        .address_space:  global
        .offset:         48
        .size:           8
        .value_kind:     global_buffer
      - .offset:         56
        .size:           8
        .value_kind:     by_value
      - .offset:         64
        .size:           8
        .value_kind:     by_value
      - .offset:         72
        .size:           8
        .value_kind:     by_value
      - .address_space:  global
        .offset:         80
        .size:           8
        .value_kind:     global_buffer
      - .offset:         88
        .size:           8
        .value_kind:     by_value
      - .address_space:  global
        .offset:         96
        .size:           8
        .value_kind:     global_buffer
      - .offset:         104
        .size:           8
        .value_kind:     by_value
      - .offset:         112
        .size:           8
        .value_kind:     by_value
      - .offset:         120
        .size:           8
        .value_kind:     by_value
      - .offset:         128
        .size:           4
        .value_kind:     by_value
      - .offset:         136
        .size:           4
        .value_kind:     hidden_block_count_x
      - .offset:         140
        .size:           4
        .value_kind:     hidden_block_count_y
      - .offset:         144
        .size:           4
        .value_kind:     hidden_block_count_z
      - .offset:         148
        .size:           2
        .value_kind:     hidden_group_size_x
      - .offset:         150
        .size:           2
        .value_kind:     hidden_group_size_y
      - .offset:         152
        .size:           2
        .value_kind:     hidden_group_size_z
      - .offset:         154
        .size:           2
        .value_kind:     hidden_remainder_x
      - .offset:         156
        .size:           2
        .value_kind:     hidden_remainder_y
      - .offset:         158
        .size:           2
        .value_kind:     hidden_remainder_z
      - .offset:         176
        .size:           8
        .value_kind:     hidden_global_offset_x
      - .offset:         184
        .size:           8
        .value_kind:     hidden_global_offset_y
      - .offset:         192
        .size:           8
        .value_kind:     hidden_global_offset_z
      - .offset:         200
        .size:           2
        .value_kind:     hidden_grid_dims
    .group_segment_fixed_size: 4096
    .kernarg_segment_align: 8
    .kernarg_segment_size: 392
    .language:       OpenCL C
    .language_version:
      - 2
      - 0
    .max_flat_workgroup_size: 1024
    .name:           _ZL19rocblas_spmv_kernelILi64ELi16EPKfS1_PfEvbiT1_lT2_llS4_lllS3_lT3_llli
    .private_segment_fixed_size: 0
    .sgpr_count:     33
    .sgpr_spill_count: 0
    .symbol:         _ZL19rocblas_spmv_kernelILi64ELi16EPKfS1_PfEvbiT1_lT2_llS4_lllS3_lT3_llli.kd
    .uniform_work_group_size: 1
    .uses_dynamic_stack: false
    .vgpr_count:     13
    .vgpr_spill_count: 0
    .wavefront_size: 32
    .workgroup_processor_mode: 1
  - .args:
      - .offset:         0
        .size:           1
        .value_kind:     by_value
      - .offset:         4
        .size:           4
        .value_kind:     by_value
      - .offset:         8
        .size:           4
        .value_kind:     by_value
      - .offset:         16
        .size:           8
        .value_kind:     by_value
      - .actual_access:  read_only
        .address_space:  global
        .offset:         24
        .size:           8
        .value_kind:     global_buffer
      - .offset:         32
        .size:           8
        .value_kind:     by_value
      - .offset:         40
        .size:           8
        .value_kind:     by_value
      - .actual_access:  read_only
        .address_space:  global
        .offset:         48
        .size:           8
        .value_kind:     global_buffer
      - .offset:         56
        .size:           8
        .value_kind:     by_value
      - .offset:         64
        .size:           8
        .value_kind:     by_value
      - .offset:         72
        .size:           8
        .value_kind:     by_value
      - .offset:         80
        .size:           4
        .value_kind:     by_value
      - .offset:         88
        .size:           8
        .value_kind:     by_value
      - .address_space:  global
        .offset:         96
        .size:           8
        .value_kind:     global_buffer
      - .offset:         104
        .size:           8
        .value_kind:     by_value
      - .offset:         112
        .size:           8
        .value_kind:     by_value
      - .offset:         120
        .size:           8
        .value_kind:     by_value
      - .offset:         128
        .size:           4
        .value_kind:     by_value
      - .offset:         136
        .size:           4
        .value_kind:     hidden_block_count_x
      - .offset:         140
        .size:           4
        .value_kind:     hidden_block_count_y
      - .offset:         144
        .size:           4
        .value_kind:     hidden_block_count_z
      - .offset:         148
        .size:           2
        .value_kind:     hidden_group_size_x
      - .offset:         150
        .size:           2
        .value_kind:     hidden_group_size_y
      - .offset:         152
        .size:           2
        .value_kind:     hidden_group_size_z
      - .offset:         154
        .size:           2
        .value_kind:     hidden_remainder_x
      - .offset:         156
        .size:           2
        .value_kind:     hidden_remainder_y
      - .offset:         158
        .size:           2
        .value_kind:     hidden_remainder_z
      - .offset:         176
        .size:           8
        .value_kind:     hidden_global_offset_x
      - .offset:         184
        .size:           8
        .value_kind:     hidden_global_offset_y
      - .offset:         192
        .size:           8
        .value_kind:     hidden_global_offset_z
      - .offset:         200
        .size:           2
        .value_kind:     hidden_grid_dims
    .group_segment_fixed_size: 4096
    .kernarg_segment_align: 8
    .kernarg_segment_size: 392
    .language:       OpenCL C
    .language_version:
      - 2
      - 0
    .max_flat_workgroup_size: 1024
    .name:           _ZL19rocblas_spmv_kernelILi64ELi16EfPKfPfEvbiT1_lT2_llS4_lllS3_lT3_llli
    .private_segment_fixed_size: 0
    .sgpr_count:     33
    .sgpr_spill_count: 0
    .symbol:         _ZL19rocblas_spmv_kernelILi64ELi16EfPKfPfEvbiT1_lT2_llS4_lllS3_lT3_llli.kd
    .uniform_work_group_size: 1
    .uses_dynamic_stack: false
    .vgpr_count:     13
    .vgpr_spill_count: 0
    .wavefront_size: 32
    .workgroup_processor_mode: 1
  - .args:
      - .offset:         0
        .size:           1
        .value_kind:     by_value
      - .offset:         4
        .size:           4
        .value_kind:     by_value
      - .address_space:  global
        .offset:         8
        .size:           8
        .value_kind:     global_buffer
      - .offset:         16
        .size:           8
        .value_kind:     by_value
      - .actual_access:  read_only
        .address_space:  global
        .offset:         24
        .size:           8
        .value_kind:     global_buffer
      - .offset:         32
        .size:           8
        .value_kind:     by_value
      - .offset:         40
        .size:           8
        .value_kind:     by_value
      - .actual_access:  read_only
        .address_space:  global
        .offset:         48
        .size:           8
        .value_kind:     global_buffer
      - .offset:         56
        .size:           8
        .value_kind:     by_value
      - .offset:         64
        .size:           8
        .value_kind:     by_value
      - .offset:         72
        .size:           8
        .value_kind:     by_value
      - .address_space:  global
        .offset:         80
        .size:           8
        .value_kind:     global_buffer
      - .offset:         88
        .size:           8
        .value_kind:     by_value
      - .address_space:  global
        .offset:         96
        .size:           8
        .value_kind:     global_buffer
      - .offset:         104
        .size:           8
        .value_kind:     by_value
      - .offset:         112
        .size:           8
        .value_kind:     by_value
      - .offset:         120
        .size:           8
        .value_kind:     by_value
      - .offset:         128
        .size:           4
        .value_kind:     by_value
      - .offset:         136
        .size:           4
        .value_kind:     hidden_block_count_x
      - .offset:         140
        .size:           4
        .value_kind:     hidden_block_count_y
      - .offset:         144
        .size:           4
        .value_kind:     hidden_block_count_z
      - .offset:         148
        .size:           2
        .value_kind:     hidden_group_size_x
      - .offset:         150
        .size:           2
        .value_kind:     hidden_group_size_y
      - .offset:         152
        .size:           2
        .value_kind:     hidden_group_size_z
      - .offset:         154
        .size:           2
        .value_kind:     hidden_remainder_x
      - .offset:         156
        .size:           2
        .value_kind:     hidden_remainder_y
      - .offset:         158
        .size:           2
        .value_kind:     hidden_remainder_z
      - .offset:         176
        .size:           8
        .value_kind:     hidden_global_offset_x
      - .offset:         184
        .size:           8
        .value_kind:     hidden_global_offset_y
      - .offset:         192
        .size:           8
        .value_kind:     hidden_global_offset_z
      - .offset:         200
        .size:           2
        .value_kind:     hidden_grid_dims
    .group_segment_fixed_size: 8192
    .kernarg_segment_align: 8
    .kernarg_segment_size: 392
    .language:       OpenCL C
    .language_version:
      - 2
      - 0
    .max_flat_workgroup_size: 1024
    .name:           _ZL19rocblas_spmv_kernelILi64ELi16EPKdS1_PdEvbiT1_lT2_llS4_lllS3_lT3_llli
    .private_segment_fixed_size: 0
    .sgpr_count:     36
    .sgpr_spill_count: 0
    .symbol:         _ZL19rocblas_spmv_kernelILi64ELi16EPKdS1_PdEvbiT1_lT2_llS4_lllS3_lT3_llli.kd
    .uniform_work_group_size: 1
    .uses_dynamic_stack: false
    .vgpr_count:     14
    .vgpr_spill_count: 0
    .wavefront_size: 32
    .workgroup_processor_mode: 1
  - .args:
      - .offset:         0
        .size:           1
        .value_kind:     by_value
      - .offset:         4
        .size:           4
        .value_kind:     by_value
      - .offset:         8
        .size:           8
        .value_kind:     by_value
      - .offset:         16
        .size:           8
        .value_kind:     by_value
      - .actual_access:  read_only
        .address_space:  global
        .offset:         24
        .size:           8
        .value_kind:     global_buffer
      - .offset:         32
        .size:           8
        .value_kind:     by_value
      - .offset:         40
        .size:           8
        .value_kind:     by_value
      - .actual_access:  read_only
        .address_space:  global
        .offset:         48
        .size:           8
        .value_kind:     global_buffer
      - .offset:         56
        .size:           8
        .value_kind:     by_value
      - .offset:         64
        .size:           8
        .value_kind:     by_value
      - .offset:         72
        .size:           8
        .value_kind:     by_value
      - .offset:         80
        .size:           8
        .value_kind:     by_value
      - .offset:         88
        .size:           8
        .value_kind:     by_value
      - .address_space:  global
        .offset:         96
        .size:           8
        .value_kind:     global_buffer
      - .offset:         104
        .size:           8
        .value_kind:     by_value
      - .offset:         112
        .size:           8
        .value_kind:     by_value
      - .offset:         120
        .size:           8
        .value_kind:     by_value
      - .offset:         128
        .size:           4
        .value_kind:     by_value
      - .offset:         136
        .size:           4
        .value_kind:     hidden_block_count_x
      - .offset:         140
        .size:           4
        .value_kind:     hidden_block_count_y
      - .offset:         144
        .size:           4
        .value_kind:     hidden_block_count_z
      - .offset:         148
        .size:           2
        .value_kind:     hidden_group_size_x
      - .offset:         150
        .size:           2
        .value_kind:     hidden_group_size_y
      - .offset:         152
        .size:           2
        .value_kind:     hidden_group_size_z
      - .offset:         154
        .size:           2
        .value_kind:     hidden_remainder_x
      - .offset:         156
        .size:           2
        .value_kind:     hidden_remainder_y
      - .offset:         158
        .size:           2
        .value_kind:     hidden_remainder_z
      - .offset:         176
        .size:           8
        .value_kind:     hidden_global_offset_x
      - .offset:         184
        .size:           8
        .value_kind:     hidden_global_offset_y
      - .offset:         192
        .size:           8
        .value_kind:     hidden_global_offset_z
      - .offset:         200
        .size:           2
        .value_kind:     hidden_grid_dims
    .group_segment_fixed_size: 8192
    .kernarg_segment_align: 8
    .kernarg_segment_size: 392
    .language:       OpenCL C
    .language_version:
      - 2
      - 0
    .max_flat_workgroup_size: 1024
    .name:           _ZL19rocblas_spmv_kernelILi64ELi16EdPKdPdEvbiT1_lT2_llS4_lllS3_lT3_llli
    .private_segment_fixed_size: 0
    .sgpr_count:     36
    .sgpr_spill_count: 0
    .symbol:         _ZL19rocblas_spmv_kernelILi64ELi16EdPKdPdEvbiT1_lT2_llS4_lllS3_lT3_llli.kd
    .uniform_work_group_size: 1
    .uses_dynamic_stack: false
    .vgpr_count:     14
    .vgpr_spill_count: 0
    .wavefront_size: 32
    .workgroup_processor_mode: 1
  - .args:
      - .offset:         0
        .size:           1
        .value_kind:     by_value
      - .offset:         4
        .size:           4
        .value_kind:     by_value
      - .address_space:  global
        .offset:         8
        .size:           8
        .value_kind:     global_buffer
      - .offset:         16
        .size:           8
        .value_kind:     by_value
      - .actual_access:  read_only
        .address_space:  global
        .offset:         24
        .size:           8
        .value_kind:     global_buffer
      - .offset:         32
        .size:           8
        .value_kind:     by_value
      - .offset:         40
        .size:           8
        .value_kind:     by_value
      - .actual_access:  read_only
        .address_space:  global
        .offset:         48
        .size:           8
        .value_kind:     global_buffer
      - .offset:         56
        .size:           8
        .value_kind:     by_value
      - .offset:         64
        .size:           8
        .value_kind:     by_value
      - .offset:         72
        .size:           8
        .value_kind:     by_value
      - .address_space:  global
        .offset:         80
        .size:           8
        .value_kind:     global_buffer
      - .offset:         88
        .size:           8
        .value_kind:     by_value
      - .actual_access:  read_only
        .address_space:  global
        .offset:         96
        .size:           8
        .value_kind:     global_buffer
      - .offset:         104
        .size:           8
        .value_kind:     by_value
      - .offset:         112
        .size:           8
        .value_kind:     by_value
      - .offset:         120
        .size:           8
        .value_kind:     by_value
      - .offset:         128
        .size:           4
        .value_kind:     by_value
      - .offset:         136
        .size:           4
        .value_kind:     hidden_block_count_x
      - .offset:         140
        .size:           4
        .value_kind:     hidden_block_count_y
      - .offset:         144
        .size:           4
        .value_kind:     hidden_block_count_z
      - .offset:         148
        .size:           2
        .value_kind:     hidden_group_size_x
      - .offset:         150
        .size:           2
        .value_kind:     hidden_group_size_y
      - .offset:         152
        .size:           2
        .value_kind:     hidden_group_size_z
      - .offset:         154
        .size:           2
        .value_kind:     hidden_remainder_x
      - .offset:         156
        .size:           2
        .value_kind:     hidden_remainder_y
      - .offset:         158
        .size:           2
        .value_kind:     hidden_remainder_z
      - .offset:         176
        .size:           8
        .value_kind:     hidden_global_offset_x
      - .offset:         184
        .size:           8
        .value_kind:     hidden_global_offset_y
      - .offset:         192
        .size:           8
        .value_kind:     hidden_global_offset_z
      - .offset:         200
        .size:           2
        .value_kind:     hidden_grid_dims
    .group_segment_fixed_size: 4096
    .kernarg_segment_align: 8
    .kernarg_segment_size: 392
    .language:       OpenCL C
    .language_version:
      - 2
      - 0
    .max_flat_workgroup_size: 1024
    .name:           _ZL19rocblas_spmv_kernelILi64ELi16EPKfPKS1_PKPfEvbiT1_lT2_llS8_lllS7_lT3_llli
    .private_segment_fixed_size: 0
    .sgpr_count:     25
    .sgpr_spill_count: 0
    .symbol:         _ZL19rocblas_spmv_kernelILi64ELi16EPKfPKS1_PKPfEvbiT1_lT2_llS8_lllS7_lT3_llli.kd
    .uniform_work_group_size: 1
    .uses_dynamic_stack: false
    .vgpr_count:     13
    .vgpr_spill_count: 0
    .wavefront_size: 32
    .workgroup_processor_mode: 1
  - .args:
      - .offset:         0
        .size:           1
        .value_kind:     by_value
      - .offset:         4
        .size:           4
        .value_kind:     by_value
      - .offset:         8
        .size:           4
        .value_kind:     by_value
      - .offset:         16
        .size:           8
        .value_kind:     by_value
      - .actual_access:  read_only
        .address_space:  global
        .offset:         24
        .size:           8
        .value_kind:     global_buffer
      - .offset:         32
        .size:           8
        .value_kind:     by_value
      - .offset:         40
        .size:           8
        .value_kind:     by_value
      - .actual_access:  read_only
        .address_space:  global
        .offset:         48
        .size:           8
        .value_kind:     global_buffer
      - .offset:         56
        .size:           8
        .value_kind:     by_value
      - .offset:         64
        .size:           8
        .value_kind:     by_value
      - .offset:         72
        .size:           8
        .value_kind:     by_value
      - .offset:         80
        .size:           4
        .value_kind:     by_value
      - .offset:         88
        .size:           8
        .value_kind:     by_value
      - .actual_access:  read_only
        .address_space:  global
        .offset:         96
        .size:           8
        .value_kind:     global_buffer
      - .offset:         104
        .size:           8
        .value_kind:     by_value
      - .offset:         112
        .size:           8
        .value_kind:     by_value
      - .offset:         120
        .size:           8
        .value_kind:     by_value
      - .offset:         128
        .size:           4
        .value_kind:     by_value
      - .offset:         136
        .size:           4
        .value_kind:     hidden_block_count_x
      - .offset:         140
        .size:           4
        .value_kind:     hidden_block_count_y
      - .offset:         144
        .size:           4
        .value_kind:     hidden_block_count_z
      - .offset:         148
        .size:           2
        .value_kind:     hidden_group_size_x
      - .offset:         150
        .size:           2
        .value_kind:     hidden_group_size_y
      - .offset:         152
        .size:           2
        .value_kind:     hidden_group_size_z
      - .offset:         154
        .size:           2
        .value_kind:     hidden_remainder_x
      - .offset:         156
        .size:           2
        .value_kind:     hidden_remainder_y
      - .offset:         158
        .size:           2
        .value_kind:     hidden_remainder_z
      - .offset:         176
        .size:           8
        .value_kind:     hidden_global_offset_x
      - .offset:         184
        .size:           8
        .value_kind:     hidden_global_offset_y
      - .offset:         192
        .size:           8
        .value_kind:     hidden_global_offset_z
      - .offset:         200
        .size:           2
        .value_kind:     hidden_grid_dims
    .group_segment_fixed_size: 4096
    .kernarg_segment_align: 8
    .kernarg_segment_size: 392
    .language:       OpenCL C
    .language_version:
      - 2
      - 0
    .max_flat_workgroup_size: 1024
    .name:           _ZL19rocblas_spmv_kernelILi64ELi16EfPKPKfPKPfEvbiT1_lT2_llS8_lllS7_lT3_llli
    .private_segment_fixed_size: 0
    .sgpr_count:     26
    .sgpr_spill_count: 0
    .symbol:         _ZL19rocblas_spmv_kernelILi64ELi16EfPKPKfPKPfEvbiT1_lT2_llS8_lllS7_lT3_llli.kd
    .uniform_work_group_size: 1
    .uses_dynamic_stack: false
    .vgpr_count:     13
    .vgpr_spill_count: 0
    .wavefront_size: 32
    .workgroup_processor_mode: 1
  - .args:
      - .offset:         0
        .size:           1
        .value_kind:     by_value
      - .offset:         4
        .size:           4
        .value_kind:     by_value
      - .address_space:  global
        .offset:         8
        .size:           8
        .value_kind:     global_buffer
      - .offset:         16
        .size:           8
        .value_kind:     by_value
      - .actual_access:  read_only
        .address_space:  global
        .offset:         24
        .size:           8
        .value_kind:     global_buffer
      - .offset:         32
        .size:           8
        .value_kind:     by_value
      - .offset:         40
        .size:           8
        .value_kind:     by_value
      - .actual_access:  read_only
        .address_space:  global
        .offset:         48
        .size:           8
        .value_kind:     global_buffer
      - .offset:         56
        .size:           8
        .value_kind:     by_value
      - .offset:         64
        .size:           8
        .value_kind:     by_value
      - .offset:         72
        .size:           8
        .value_kind:     by_value
      - .address_space:  global
        .offset:         80
        .size:           8
        .value_kind:     global_buffer
      - .offset:         88
        .size:           8
        .value_kind:     by_value
      - .actual_access:  read_only
        .address_space:  global
        .offset:         96
        .size:           8
        .value_kind:     global_buffer
      - .offset:         104
        .size:           8
        .value_kind:     by_value
      - .offset:         112
        .size:           8
        .value_kind:     by_value
      - .offset:         120
        .size:           8
        .value_kind:     by_value
      - .offset:         128
        .size:           4
        .value_kind:     by_value
      - .offset:         136
        .size:           4
        .value_kind:     hidden_block_count_x
      - .offset:         140
        .size:           4
        .value_kind:     hidden_block_count_y
      - .offset:         144
        .size:           4
        .value_kind:     hidden_block_count_z
      - .offset:         148
        .size:           2
        .value_kind:     hidden_group_size_x
      - .offset:         150
        .size:           2
        .value_kind:     hidden_group_size_y
      - .offset:         152
        .size:           2
        .value_kind:     hidden_group_size_z
      - .offset:         154
        .size:           2
        .value_kind:     hidden_remainder_x
      - .offset:         156
        .size:           2
        .value_kind:     hidden_remainder_y
      - .offset:         158
        .size:           2
        .value_kind:     hidden_remainder_z
      - .offset:         176
        .size:           8
        .value_kind:     hidden_global_offset_x
      - .offset:         184
        .size:           8
        .value_kind:     hidden_global_offset_y
      - .offset:         192
        .size:           8
        .value_kind:     hidden_global_offset_z
      - .offset:         200
        .size:           2
        .value_kind:     hidden_grid_dims
    .group_segment_fixed_size: 8192
    .kernarg_segment_align: 8
    .kernarg_segment_size: 392
    .language:       OpenCL C
    .language_version:
      - 2
      - 0
    .max_flat_workgroup_size: 1024
    .name:           _ZL19rocblas_spmv_kernelILi64ELi16EPKdPKS1_PKPdEvbiT1_lT2_llS8_lllS7_lT3_llli
    .private_segment_fixed_size: 0
    .sgpr_count:     27
    .sgpr_spill_count: 0
    .symbol:         _ZL19rocblas_spmv_kernelILi64ELi16EPKdPKS1_PKPdEvbiT1_lT2_llS8_lllS7_lT3_llli.kd
    .uniform_work_group_size: 1
    .uses_dynamic_stack: false
    .vgpr_count:     14
    .vgpr_spill_count: 0
    .wavefront_size: 32
    .workgroup_processor_mode: 1
  - .args:
      - .offset:         0
        .size:           1
        .value_kind:     by_value
      - .offset:         4
        .size:           4
        .value_kind:     by_value
      - .offset:         8
        .size:           8
        .value_kind:     by_value
      - .offset:         16
        .size:           8
        .value_kind:     by_value
      - .actual_access:  read_only
        .address_space:  global
        .offset:         24
        .size:           8
        .value_kind:     global_buffer
      - .offset:         32
        .size:           8
        .value_kind:     by_value
      - .offset:         40
        .size:           8
        .value_kind:     by_value
      - .actual_access:  read_only
        .address_space:  global
        .offset:         48
        .size:           8
        .value_kind:     global_buffer
      - .offset:         56
        .size:           8
        .value_kind:     by_value
      - .offset:         64
        .size:           8
        .value_kind:     by_value
      - .offset:         72
        .size:           8
        .value_kind:     by_value
      - .offset:         80
        .size:           8
        .value_kind:     by_value
      - .offset:         88
        .size:           8
        .value_kind:     by_value
      - .actual_access:  read_only
        .address_space:  global
        .offset:         96
        .size:           8
        .value_kind:     global_buffer
      - .offset:         104
        .size:           8
        .value_kind:     by_value
      - .offset:         112
        .size:           8
        .value_kind:     by_value
      - .offset:         120
        .size:           8
        .value_kind:     by_value
      - .offset:         128
        .size:           4
        .value_kind:     by_value
      - .offset:         136
        .size:           4
        .value_kind:     hidden_block_count_x
      - .offset:         140
        .size:           4
        .value_kind:     hidden_block_count_y
      - .offset:         144
        .size:           4
        .value_kind:     hidden_block_count_z
      - .offset:         148
        .size:           2
        .value_kind:     hidden_group_size_x
      - .offset:         150
        .size:           2
        .value_kind:     hidden_group_size_y
      - .offset:         152
        .size:           2
        .value_kind:     hidden_group_size_z
      - .offset:         154
        .size:           2
        .value_kind:     hidden_remainder_x
      - .offset:         156
        .size:           2
        .value_kind:     hidden_remainder_y
      - .offset:         158
        .size:           2
        .value_kind:     hidden_remainder_z
      - .offset:         176
        .size:           8
        .value_kind:     hidden_global_offset_x
      - .offset:         184
        .size:           8
        .value_kind:     hidden_global_offset_y
      - .offset:         192
        .size:           8
        .value_kind:     hidden_global_offset_z
      - .offset:         200
        .size:           2
        .value_kind:     hidden_grid_dims
    .group_segment_fixed_size: 8192
    .kernarg_segment_align: 8
    .kernarg_segment_size: 392
    .language:       OpenCL C
    .language_version:
      - 2
      - 0
    .max_flat_workgroup_size: 1024
    .name:           _ZL19rocblas_spmv_kernelILi64ELi16EdPKPKdPKPdEvbiT1_lT2_llS8_lllS7_lT3_llli
    .private_segment_fixed_size: 0
    .sgpr_count:     27
    .sgpr_spill_count: 0
    .symbol:         _ZL19rocblas_spmv_kernelILi64ELi16EdPKPKdPKPdEvbiT1_lT2_llS8_lllS7_lT3_llli.kd
    .uniform_work_group_size: 1
    .uses_dynamic_stack: false
    .vgpr_count:     14
    .vgpr_spill_count: 0
    .wavefront_size: 32
    .workgroup_processor_mode: 1
amdhsa.target:   amdgcn-amd-amdhsa--gfx1100
amdhsa.version:
  - 1
  - 2
...

	.end_amdgpu_metadata
